;; amdgpu-corpus repo=ROCm/rocFFT kind=compiled arch=gfx906 opt=O3
	.text
	.amdgcn_target "amdgcn-amd-amdhsa--gfx906"
	.amdhsa_code_object_version 6
	.protected	bluestein_single_back_len220_dim1_dp_op_CI_CI ; -- Begin function bluestein_single_back_len220_dim1_dp_op_CI_CI
	.globl	bluestein_single_back_len220_dim1_dp_op_CI_CI
	.p2align	8
	.type	bluestein_single_back_len220_dim1_dp_op_CI_CI,@function
bluestein_single_back_len220_dim1_dp_op_CI_CI: ; @bluestein_single_back_len220_dim1_dp_op_CI_CI
; %bb.0:
	v_mul_u32_u24_e32 v1, 0xba3, v0
	s_mov_b64 s[46:47], s[2:3]
	s_load_dwordx4 s[8:11], s[4:5], 0x28
	v_lshrrev_b32_e32 v1, 16, v1
	s_mov_b64 s[44:45], s[0:1]
	v_mad_u64_u32 v[144:145], s[0:1], s6, 5, v[1:2]
	v_mov_b32_e32 v145, 0
	s_add_u32 s44, s44, s7
	s_waitcnt lgkmcnt(0)
	v_cmp_gt_u64_e32 vcc, s[8:9], v[144:145]
	s_addc_u32 s45, s45, 0
	s_and_saveexec_b64 s[0:1], vcc
	s_cbranch_execz .LBB0_10
; %bb.1:
	s_load_dwordx4 s[0:3], s[4:5], 0x18
	s_load_dwordx4 s[12:15], s[4:5], 0x0
	v_mul_lo_u16_e32 v1, 22, v1
	v_sub_u16_e32 v211, v0, v1
	v_lshlrev_b32_e32 v214, 4, v211
	s_waitcnt lgkmcnt(0)
	s_load_dwordx4 s[16:19], s[0:1], 0x0
	s_mov_b32 s6, 0x372fe950
	s_mov_b32 s7, 0x3fd3c6ef
	;; [unrolled: 1-line block ×4, first 2 shown]
	s_waitcnt lgkmcnt(0)
	v_mad_u64_u32 v[0:1], s[0:1], s18, v144, 0
	v_mad_u64_u32 v[2:3], s[0:1], s16, v211, 0
                                        ; implicit-def: $vgpr140_vgpr141
	v_mad_u64_u32 v[4:5], s[0:1], s19, v144, v[1:2]
	s_mov_b32 s19, 0xbfe2cf23
	v_mad_u64_u32 v[5:6], s[0:1], s17, v211, v[3:4]
	v_mov_b32_e32 v1, v4
	v_lshlrev_b64 v[0:1], 4, v[0:1]
	v_mov_b32_e32 v6, s11
	v_mov_b32_e32 v3, v5
	v_add_co_u32_e32 v4, vcc, s10, v0
	v_addc_co_u32_e32 v5, vcc, v6, v1, vcc
	v_lshlrev_b64 v[0:1], 4, v[2:3]
	s_mul_i32 s0, s17, 0x160
	v_add_co_u32_e32 v0, vcc, v4, v0
	s_mul_hi_u32 s1, s16, 0x160
	v_addc_co_u32_e32 v1, vcc, v5, v1, vcc
	s_add_i32 s0, s1, s0
	s_mul_i32 s1, s16, 0x160
	global_load_dwordx4 v[40:43], v[0:1], off
	v_mov_b32_e32 v2, s0
	v_add_co_u32_e32 v0, vcc, s1, v0
	v_addc_co_u32_e32 v1, vcc, v1, v2, vcc
	global_load_dwordx4 v[36:39], v214, s[12:13]
	global_load_dwordx4 v[20:23], v214, s[12:13] offset:352
	v_mov_b32_e32 v3, s0
	v_add_co_u32_e32 v2, vcc, s1, v0
	v_addc_co_u32_e32 v3, vcc, v1, v3, vcc
	global_load_dwordx4 v[44:47], v[0:1], off
	global_load_dwordx4 v[48:51], v[2:3], off
	v_mov_b32_e32 v1, s0
	v_add_co_u32_e32 v0, vcc, s1, v2
	v_addc_co_u32_e32 v1, vcc, v3, v1, vcc
	v_mov_b32_e32 v3, s0
	v_add_co_u32_e32 v2, vcc, s1, v0
	v_addc_co_u32_e32 v3, vcc, v1, v3, vcc
	global_load_dwordx4 v[28:31], v214, s[12:13] offset:704
	global_load_dwordx4 v[229:232], v214, s[12:13] offset:1056
	global_load_dwordx4 v[52:55], v[0:1], off
	global_load_dwordx4 v[56:59], v[2:3], off
	v_mov_b32_e32 v0, s0
	v_add_co_u32_e32 v8, vcc, s1, v2
	v_addc_co_u32_e32 v9, vcc, v3, v0, vcc
	global_load_dwordx4 v[60:63], v[8:9], off
	global_load_dwordx4 v[32:35], v214, s[12:13] offset:1408
	global_load_dwordx4 v[216:219], v214, s[12:13] offset:1760
	v_add_co_u32_e32 v8, vcc, s1, v8
	v_addc_co_u32_e32 v9, vcc, v9, v0, vcc
	v_add_co_u32_e32 v12, vcc, s1, v8
	v_addc_co_u32_e32 v13, vcc, v9, v0, vcc
	global_load_dwordx4 v[64:67], v[8:9], off
	global_load_dwordx4 v[68:71], v[12:13], off
	global_load_dwordx4 v[24:27], v214, s[12:13] offset:2112
	global_load_dwordx4 v[233:236], v214, s[12:13] offset:2464
	v_add_co_u32_e32 v12, vcc, s1, v12
	v_addc_co_u32_e32 v13, vcc, v13, v0, vcc
	global_load_dwordx4 v[72:75], v[12:13], off
	v_add_co_u32_e32 v80, vcc, s1, v12
	v_addc_co_u32_e32 v81, vcc, v13, v0, vcc
	global_load_dwordx4 v[12:15], v214, s[12:13] offset:2816
	global_load_dwordx4 v[16:19], v214, s[12:13] offset:3168
	global_load_dwordx4 v[76:79], v[80:81], off
	s_mov_b32 s0, 0xcccccccd
	v_mul_hi_u32 v0, v144, s0
	s_load_dwordx4 s[8:11], s[2:3], 0x0
	s_mov_b32 s0, 0x134454ff
	s_mov_b32 s1, 0x3fee6f0e
	v_lshrrev_b32_e32 v0, 2, v0
	v_lshl_add_u32 v0, v0, 2, v0
	v_sub_u32_e32 v0, v144, v0
	v_mul_u32_u24_e32 v0, 0xdc, v0
	v_lshlrev_b32_e32 v213, 4, v0
	v_add_u32_e32 v212, v214, v213
	s_mov_b32 s17, 0xbfee6f0e
	s_mov_b32 s16, s0
	;; [unrolled: 1-line block ×5, first 2 shown]
	v_mul_lo_u16_e32 v0, 10, v211
	v_lshl_add_u32 v215, v0, 4, v213
	v_add_u16_e32 v4, 22, v211
	v_mov_b32_e32 v2, 4
	v_add_u16_e32 v8, 0x42, v211
	v_add_co_u32_e32 v145, vcc, s12, v214
	s_waitcnt vmcnt(18)
	v_mul_f64 v[80:81], v[42:43], v[38:39]
	v_mul_f64 v[82:83], v[40:41], v[38:39]
	s_waitcnt vmcnt(16)
	v_mul_f64 v[84:85], v[46:47], v[22:23]
	v_mul_f64 v[86:87], v[44:45], v[22:23]
	v_fma_f64 v[40:41], v[40:41], v[36:37], v[80:81]
	v_fma_f64 v[42:43], v[42:43], v[36:37], -v[82:83]
	v_fma_f64 v[44:45], v[44:45], v[20:21], v[84:85]
	v_fma_f64 v[46:47], v[46:47], v[20:21], -v[86:87]
	ds_write_b128 v212, v[40:43]
	ds_write_b128 v212, v[44:47] offset:352
	s_waitcnt vmcnt(14)
	v_mul_f64 v[80:81], v[50:51], v[30:31]
	v_mul_f64 v[82:83], v[48:49], v[30:31]
	s_waitcnt vmcnt(9)
	v_mul_f64 v[88:89], v[58:59], v[34:35]
	v_mul_f64 v[90:91], v[56:57], v[34:35]
	;; [unrolled: 1-line block ×4, first 2 shown]
	s_waitcnt vmcnt(8)
	v_mul_f64 v[92:93], v[62:63], v[218:219]
	v_mul_f64 v[94:95], v[60:61], v[218:219]
	v_fma_f64 v[40:41], v[48:49], v[28:29], v[80:81]
	v_fma_f64 v[42:43], v[50:51], v[28:29], -v[82:83]
	v_fma_f64 v[48:49], v[56:57], v[32:33], v[88:89]
	v_fma_f64 v[50:51], v[58:59], v[32:33], -v[90:91]
	s_waitcnt vmcnt(5)
	v_mul_f64 v[56:57], v[66:67], v[26:27]
	v_mul_f64 v[58:59], v[64:65], v[26:27]
	v_fma_f64 v[44:45], v[52:53], v[229:230], v[84:85]
	v_fma_f64 v[46:47], v[54:55], v[229:230], -v[86:87]
	v_fma_f64 v[52:53], v[60:61], v[216:217], v[92:93]
	v_fma_f64 v[54:55], v[62:63], v[216:217], -v[94:95]
	s_waitcnt vmcnt(4)
	v_mul_f64 v[60:61], v[70:71], v[235:236]
	v_mul_f64 v[62:63], v[68:69], v[235:236]
	s_waitcnt vmcnt(2)
	v_mul_f64 v[80:81], v[74:75], v[14:15]
	v_mul_f64 v[82:83], v[72:73], v[14:15]
	;; [unrolled: 3-line block ×3, first 2 shown]
	v_fma_f64 v[56:57], v[64:65], v[24:25], v[56:57]
	v_fma_f64 v[58:59], v[66:67], v[24:25], -v[58:59]
	v_fma_f64 v[60:61], v[68:69], v[233:234], v[60:61]
	v_fma_f64 v[62:63], v[70:71], v[233:234], -v[62:63]
	;; [unrolled: 2-line block ×4, first 2 shown]
	ds_write_b128 v212, v[40:43] offset:704
	ds_write_b128 v212, v[44:47] offset:1056
	;; [unrolled: 1-line block ×8, first 2 shown]
	s_waitcnt lgkmcnt(0)
	s_barrier
	ds_read_b128 v[40:43], v212
	ds_read_b128 v[44:47], v212 offset:352
	ds_read_b128 v[48:51], v212 offset:704
	;; [unrolled: 1-line block ×6, first 2 shown]
	s_waitcnt lgkmcnt(4)
	v_add_f64 v[76:77], v[40:41], v[48:49]
	ds_read_b128 v[68:71], v212 offset:2464
	ds_read_b128 v[72:75], v212 offset:2816
	s_waitcnt lgkmcnt(4)
	v_add_f64 v[80:81], v[52:53], v[56:57]
	v_add_f64 v[88:89], v[54:55], -v[58:59]
	v_add_f64 v[90:91], v[48:49], -v[52:53]
	v_add_f64 v[96:97], v[42:43], v[50:51]
	s_waitcnt lgkmcnt(0)
	v_add_f64 v[94:95], v[48:49], v[72:73]
	v_add_f64 v[82:83], v[76:77], v[52:53]
	v_add_f64 v[84:85], v[50:51], -v[74:75]
	v_add_f64 v[92:93], v[72:73], -v[56:57]
	v_fma_f64 v[80:81], v[80:81], -0.5, v[40:41]
	v_add_f64 v[98:99], v[48:49], -v[72:73]
	v_add_f64 v[48:49], v[52:53], -v[48:49]
	ds_read_b128 v[76:79], v212 offset:3168
	v_fma_f64 v[40:41], v[94:95], -0.5, v[40:41]
	v_add_f64 v[82:83], v[82:83], v[56:57]
	v_add_f64 v[52:53], v[52:53], -v[56:57]
	v_add_f64 v[90:91], v[90:91], v[92:93]
	v_fma_f64 v[86:87], v[84:85], s[0:1], v[80:81]
	v_fma_f64 v[80:81], v[84:85], s[16:17], v[80:81]
	v_add_f64 v[92:93], v[54:55], v[58:59]
	v_add_f64 v[100:101], v[74:75], -v[58:59]
	v_fma_f64 v[94:95], v[88:89], s[16:17], v[40:41]
	v_add_f64 v[82:83], v[82:83], v[72:73]
	v_add_f64 v[72:73], v[56:57], -v[72:73]
	v_fma_f64 v[40:41], v[88:89], s[0:1], v[40:41]
	v_fma_f64 v[86:87], v[88:89], s[2:3], v[86:87]
	;; [unrolled: 1-line block ×3, first 2 shown]
	v_add_f64 v[88:89], v[96:97], v[54:55]
	v_fma_f64 v[92:93], v[92:93], -0.5, v[42:43]
	v_fma_f64 v[94:95], v[84:85], s[2:3], v[94:95]
	v_add_f64 v[56:57], v[50:51], -v[54:55]
	v_add_f64 v[48:49], v[48:49], v[72:73]
	v_add_f64 v[72:73], v[50:51], v[74:75]
	v_fma_f64 v[40:41], v[84:85], s[18:19], v[40:41]
	v_fma_f64 v[86:87], v[90:91], s[6:7], v[86:87]
	v_add_f64 v[84:85], v[88:89], v[58:59]
	v_add_f64 v[88:89], v[64:65], v[68:69]
	v_fma_f64 v[96:97], v[98:99], s[16:17], v[92:93]
	v_fma_f64 v[92:93], v[98:99], s[0:1], v[92:93]
	;; [unrolled: 1-line block ×3, first 2 shown]
	v_fma_f64 v[42:43], v[72:73], -0.5, v[42:43]
	v_fma_f64 v[72:73], v[48:49], s[6:7], v[40:41]
	v_add_f64 v[40:41], v[44:45], v[60:61]
	v_fma_f64 v[80:81], v[90:91], s[6:7], v[80:81]
	v_fma_f64 v[48:49], v[88:89], -0.5, v[44:45]
	s_waitcnt lgkmcnt(0)
	v_add_f64 v[88:89], v[62:63], -v[78:79]
	v_fma_f64 v[90:91], v[52:53], s[18:19], v[96:97]
	v_add_f64 v[56:57], v[56:57], v[100:101]
	v_add_f64 v[84:85], v[84:85], v[74:75]
	v_fma_f64 v[96:97], v[52:53], s[0:1], v[42:43]
	v_add_f64 v[40:41], v[40:41], v[64:65]
	v_add_f64 v[50:51], v[54:55], -v[50:51]
	v_add_f64 v[54:55], v[58:59], -v[74:75]
	v_fma_f64 v[42:43], v[52:53], s[16:17], v[42:43]
	v_fma_f64 v[58:59], v[88:89], s[0:1], v[48:49]
	v_add_f64 v[74:75], v[66:67], -v[70:71]
	v_add_f64 v[100:101], v[60:61], -v[64:65]
	;; [unrolled: 1-line block ×3, first 2 shown]
	v_fma_f64 v[52:53], v[52:53], s[2:3], v[92:93]
	v_add_f64 v[40:41], v[40:41], v[68:69]
	v_add_f64 v[92:93], v[60:61], v[76:77]
	v_fma_f64 v[96:97], v[98:99], s[18:19], v[96:97]
	v_add_f64 v[50:51], v[50:51], v[54:55]
	v_fma_f64 v[42:43], v[98:99], s[2:3], v[42:43]
	v_fma_f64 v[54:55], v[74:75], s[2:3], v[58:59]
	v_add_f64 v[58:59], v[100:101], v[102:103]
	v_fma_f64 v[98:99], v[56:57], s[6:7], v[52:53]
	v_add_f64 v[52:53], v[66:67], v[70:71]
	v_add_f64 v[100:101], v[40:41], v[76:77]
	v_add_f64 v[40:41], v[62:63], v[78:79]
	v_fma_f64 v[44:45], v[92:93], -0.5, v[44:45]
	v_fma_f64 v[90:91], v[56:57], s[6:7], v[90:91]
	v_fma_f64 v[48:49], v[88:89], s[16:17], v[48:49]
	;; [unrolled: 1-line block ×5, first 2 shown]
	v_fma_f64 v[52:53], v[52:53], -0.5, v[46:47]
	v_add_f64 v[54:55], v[60:61], -v[76:77]
	v_add_f64 v[56:57], v[64:65], -v[60:61]
	;; [unrolled: 1-line block ×4, first 2 shown]
	v_fma_f64 v[40:41], v[40:41], -0.5, v[46:47]
	v_fma_f64 v[50:51], v[74:75], s[16:17], v[44:45]
	v_fma_f64 v[44:45], v[74:75], s[0:1], v[44:45]
	v_add_f64 v[46:47], v[46:47], v[62:63]
	v_fma_f64 v[48:49], v[74:75], s[18:19], v[48:49]
	v_fma_f64 v[68:69], v[54:55], s[16:17], v[52:53]
	v_add_f64 v[74:75], v[62:63], -v[66:67]
	v_add_f64 v[76:77], v[78:79], -v[70:71]
	v_add_f64 v[56:57], v[56:57], v[60:61]
	v_fma_f64 v[60:61], v[64:65], s[0:1], v[40:41]
	v_add_f64 v[62:63], v[66:67], -v[62:63]
	v_add_f64 v[102:103], v[70:71], -v[78:79]
	v_fma_f64 v[50:51], v[88:89], s[2:3], v[50:51]
	v_fma_f64 v[44:45], v[88:89], s[18:19], v[44:45]
	v_add_f64 v[46:47], v[46:47], v[66:67]
	v_fma_f64 v[52:53], v[54:55], s[0:1], v[52:53]
	v_fma_f64 v[40:41], v[64:65], s[16:17], v[40:41]
	v_fma_f64 v[66:67], v[64:65], s[18:19], v[68:69]
	v_add_f64 v[68:69], v[74:75], v[76:77]
	v_fma_f64 v[60:61], v[54:55], s[18:19], v[60:61]
	v_add_f64 v[62:63], v[62:63], v[102:103]
	v_fma_f64 v[50:51], v[56:57], s[6:7], v[50:51]
	v_fma_f64 v[56:57], v[56:57], s[6:7], v[44:45]
	v_add_f64 v[44:45], v[46:47], v[70:71]
	v_fma_f64 v[46:47], v[64:65], s[2:3], v[52:53]
	v_fma_f64 v[40:41], v[54:55], s[2:3], v[40:41]
	;; [unrolled: 1-line block ×5, first 2 shown]
	v_mul_f64 v[58:59], v[42:43], s[20:21]
	v_mul_f64 v[42:43], v[42:43], s[18:19]
	v_add_f64 v[66:67], v[44:45], v[78:79]
	v_fma_f64 v[44:45], v[68:69], s[6:7], v[46:47]
	v_fma_f64 v[46:47], v[62:63], s[6:7], v[40:41]
	v_mul_f64 v[62:63], v[56:57], s[6:7]
	v_mul_f64 v[64:65], v[48:49], s[20:21]
	;; [unrolled: 1-line block ×3, first 2 shown]
	v_fma_f64 v[68:69], v[52:53], s[2:3], v[58:59]
	v_mul_f64 v[58:59], v[50:51], s[16:17]
	v_fma_f64 v[88:89], v[52:53], s[20:21], v[42:43]
	v_mul_f64 v[74:75], v[44:45], s[20:21]
	v_mul_f64 v[70:71], v[46:47], s[6:7]
	v_fma_f64 v[62:63], v[46:47], s[0:1], -v[62:63]
	v_fma_f64 v[78:79], v[44:45], s[2:3], -v[64:65]
	v_fma_f64 v[76:77], v[50:51], s[6:7], v[60:61]
	v_add_f64 v[40:41], v[82:83], v[100:101]
	v_fma_f64 v[102:103], v[54:55], s[6:7], v[58:59]
	v_add_f64 v[42:43], v[84:85], v[66:67]
	v_fma_f64 v[106:107], v[48:49], s[18:19], -v[74:75]
	v_fma_f64 v[104:105], v[56:57], s[16:17], -v[70:71]
	v_add_f64 v[44:45], v[86:87], v[68:69]
	v_add_f64 v[46:47], v[90:91], v[88:89]
	;; [unrolled: 1-line block ×3, first 2 shown]
	s_movk_i32 s0, 0xcd
	v_add_f64 v[50:51], v[92:93], v[102:103]
	v_add_f64 v[52:53], v[72:73], v[62:63]
	v_mul_lo_u16_sdwa v0, v211, s0 dst_sel:DWORD dst_unused:UNUSED_PAD src0_sel:BYTE_0 src1_sel:DWORD
	v_add_f64 v[54:55], v[96:97], v[104:105]
	v_add_f64 v[56:57], v[80:81], v[78:79]
	;; [unrolled: 1-line block ×3, first 2 shown]
	v_lshrrev_b16_e32 v0, 11, v0
	v_mul_lo_u16_sdwa v5, v4, s0 dst_sel:DWORD dst_unused:UNUSED_PAD src0_sel:BYTE_0 src1_sel:DWORD
	v_add_f64 v[60:61], v[82:83], -v[100:101]
	v_add_f64 v[72:73], v[72:73], -v[62:63]
	;; [unrolled: 1-line block ×3, first 2 shown]
	v_mul_lo_u16_e32 v1, 10, v0
	v_lshrrev_b16_e32 v5, 11, v5
	v_add_f64 v[64:65], v[86:87], -v[68:69]
	v_add_f64 v[66:67], v[90:91], -v[88:89]
	v_sub_u16_e32 v1, v211, v1
	v_mul_lo_u16_e32 v6, 10, v5
	v_add_f64 v[68:69], v[94:95], -v[76:77]
	v_add_f64 v[70:71], v[92:93], -v[102:103]
	v_lshlrev_b32_sdwa v3, v2, v1 dst_sel:DWORD dst_unused:UNUSED_PAD src0_sel:DWORD src1_sel:BYTE_0
	v_sub_u16_e32 v4, v4, v6
	v_add_f64 v[76:77], v[80:81], -v[78:79]
	v_add_f64 v[74:75], v[96:97], -v[104:105]
	;; [unrolled: 1-line block ×3, first 2 shown]
	s_barrier
	ds_write_b128 v215, v[40:43]
	ds_write_b128 v215, v[44:47] offset:16
	ds_write_b128 v215, v[48:51] offset:32
	;; [unrolled: 1-line block ×9, first 2 shown]
	s_waitcnt lgkmcnt(0)
	s_barrier
	v_lshlrev_b32_sdwa v6, v2, v4 dst_sel:DWORD dst_unused:UNUSED_PAD src0_sel:DWORD src1_sel:BYTE_0
	global_load_dwordx4 v[52:55], v3, s[14:15]
	global_load_dwordx4 v[48:51], v6, s[14:15]
	v_add_u16_e32 v3, 44, v211
	v_mul_lo_u16_sdwa v6, v3, s0 dst_sel:DWORD dst_unused:UNUSED_PAD src0_sel:BYTE_0 src1_sel:DWORD
	v_lshrrev_b16_e32 v6, 11, v6
	v_mul_lo_u16_e32 v7, 10, v6
	v_mul_lo_u16_sdwa v9, v8, s0 dst_sel:DWORD dst_unused:UNUSED_PAD src0_sel:BYTE_0 src1_sel:DWORD
	v_sub_u16_e32 v3, v3, v7
	v_lshrrev_b16_e32 v9, 11, v9
	v_lshlrev_b32_sdwa v7, v2, v3 dst_sel:DWORD dst_unused:UNUSED_PAD src0_sel:DWORD src1_sel:BYTE_0
	v_mul_lo_u16_e32 v10, 10, v9
	global_load_dwordx4 v[56:59], v7, s[14:15]
	v_sub_u16_e32 v7, v8, v10
	v_lshlrev_b32_sdwa v8, v2, v7 dst_sel:DWORD dst_unused:UNUSED_PAD src0_sel:DWORD src1_sel:BYTE_0
	global_load_dwordx4 v[60:63], v8, s[14:15]
	v_add_u16_e32 v8, 0x58, v211
	v_mul_lo_u16_sdwa v10, v8, s0 dst_sel:DWORD dst_unused:UNUSED_PAD src0_sel:BYTE_0 src1_sel:DWORD
	v_lshrrev_b16_e32 v10, 11, v10
	v_mul_lo_u16_e32 v11, 10, v10
	v_sub_u16_e32 v8, v8, v11
	v_lshlrev_b32_sdwa v2, v2, v8 dst_sel:DWORD dst_unused:UNUSED_PAD src0_sel:DWORD src1_sel:BYTE_0
	global_load_dwordx4 v[64:67], v2, s[14:15]
	ds_read_b128 v[40:43], v212 offset:1760
	ds_read_b128 v[44:47], v212
	ds_read_b128 v[68:71], v212 offset:352
	ds_read_b128 v[72:75], v212 offset:2112
	;; [unrolled: 1-line block ×6, first 2 shown]
	v_mad_legacy_u16 v0, v0, 20, v1
	v_and_b32_e32 v0, 0xff, v0
	v_lshl_add_u32 v237, v0, 4, v213
	v_mad_legacy_u16 v0, v5, 20, v4
	v_and_b32_e32 v0, 0xff, v0
	v_lshl_add_u32 v238, v0, 4, v213
	v_mul_u32_u24_e32 v0, 20, v6
	v_add_u32_sdwa v0, v0, v3 dst_sel:DWORD dst_unused:UNUSED_PAD src0_sel:DWORD src1_sel:BYTE_0
	s_load_dwordx2 s[2:3], s[4:5], 0x38
	v_lshl_add_u32 v241, v0, 4, v213
	v_mul_u32_u24_e32 v0, 20, v9
	v_add_u32_sdwa v0, v0, v7 dst_sel:DWORD dst_unused:UNUSED_PAD src0_sel:DWORD src1_sel:BYTE_0
	v_mov_b32_e32 v2, s13
	v_lshl_add_u32 v239, v0, 4, v213
	v_mul_u32_u24_e32 v0, 20, v10
	v_addc_co_u32_e32 v146, vcc, 0, v2, vcc
	v_add_u32_sdwa v0, v0, v8 dst_sel:DWORD dst_unused:UNUSED_PAD src0_sel:DWORD src1_sel:BYTE_0
	v_lshl_add_u32 v220, v0, 4, v213
	v_cmp_gt_u16_e32 vcc, 20, v211
	s_waitcnt vmcnt(4) lgkmcnt(0)
	v_mul_f64 v[92:93], v[42:43], v[54:55]
	v_mul_f64 v[94:95], v[40:41], v[54:55]
	s_waitcnt vmcnt(3)
	v_mul_f64 v[96:97], v[74:75], v[50:51]
	v_mul_f64 v[98:99], v[72:73], v[50:51]
	v_fma_f64 v[40:41], v[40:41], v[52:53], -v[92:93]
	v_fma_f64 v[42:43], v[42:43], v[52:53], v[94:95]
	v_fma_f64 v[92:93], v[72:73], v[48:49], -v[96:97]
	s_waitcnt vmcnt(2)
	v_mul_f64 v[100:101], v[78:79], v[58:59]
	v_mul_f64 v[102:103], v[76:77], v[58:59]
	v_fma_f64 v[94:95], v[74:75], v[48:49], v[98:99]
	s_waitcnt vmcnt(1)
	v_mul_f64 v[72:73], v[86:87], v[62:63]
	v_mul_f64 v[74:75], v[84:85], v[62:63]
	v_add_f64 v[108:109], v[68:69], -v[92:93]
	v_fma_f64 v[76:77], v[76:77], v[56:57], -v[100:101]
	v_fma_f64 v[78:79], v[78:79], v[56:57], v[102:103]
	s_waitcnt vmcnt(0)
	v_mul_f64 v[96:97], v[90:91], v[66:67]
	v_mul_f64 v[98:99], v[88:89], v[66:67]
	v_fma_f64 v[84:85], v[84:85], v[60:61], -v[72:73]
	v_fma_f64 v[86:87], v[86:87], v[60:61], v[74:75]
	v_add_f64 v[100:101], v[44:45], -v[40:41]
	v_add_f64 v[102:103], v[46:47], -v[42:43]
	ds_read_b128 v[40:43], v212 offset:704
	ds_read_b128 v[72:75], v212 offset:1056
	v_add_f64 v[110:111], v[70:71], -v[94:95]
	v_fma_f64 v[88:89], v[88:89], v[64:65], -v[96:97]
	v_fma_f64 v[90:91], v[90:91], v[64:65], v[98:99]
	s_waitcnt lgkmcnt(1)
	v_add_f64 v[112:113], v[40:41], -v[76:77]
	v_add_f64 v[114:115], v[42:43], -v[78:79]
	s_waitcnt lgkmcnt(0)
	v_add_f64 v[124:125], v[72:73], -v[84:85]
	v_add_f64 v[126:127], v[74:75], -v[86:87]
	v_fma_f64 v[104:105], v[44:45], 2.0, -v[100:101]
	v_fma_f64 v[106:107], v[46:47], 2.0, -v[102:103]
	v_add_f64 v[136:137], v[80:81], -v[88:89]
	v_add_f64 v[138:139], v[82:83], -v[90:91]
	v_fma_f64 v[116:117], v[68:69], 2.0, -v[108:109]
	v_fma_f64 v[118:119], v[70:71], 2.0, -v[110:111]
	;; [unrolled: 1-line block ×8, first 2 shown]
	s_barrier
	ds_write_b128 v237, v[104:107]
	ds_write_b128 v237, v[100:103] offset:160
	ds_write_b128 v238, v[116:119]
	ds_write_b128 v238, v[108:111] offset:160
	;; [unrolled: 2-line block ×5, first 2 shown]
	s_waitcnt lgkmcnt(0)
	s_barrier
	s_and_saveexec_b64 s[0:1], vcc
	s_cbranch_execz .LBB0_3
; %bb.2:
	ds_read_b128 v[104:107], v212
	ds_read_b128 v[100:103], v212 offset:320
	ds_read_b128 v[116:119], v212 offset:640
	;; [unrolled: 1-line block ×10, first 2 shown]
.LBB0_3:
	s_or_b64 exec, exec, s[0:1]
	v_subrev_u32_e32 v0, 20, v211
	v_cndmask_b32_e32 v0, v0, v211, vcc
	v_mul_hi_i32_i24_e32 v1, 0xa0, v0
	v_mul_i32_i24_e32 v0, 0xa0, v0
	v_mov_b32_e32 v2, s15
	v_add_co_u32_e64 v76, s[0:1], s14, v0
	v_addc_co_u32_e64 v77, s[0:1], v2, v1, s[0:1]
	global_load_dwordx4 v[44:47], v[76:77], off offset:160
	global_load_dwordx4 v[40:43], v[76:77], off offset:176
	;; [unrolled: 1-line block ×9, first 2 shown]
	s_nop 0
	global_load_dwordx4 v[76:79], v[76:77], off offset:288
	s_mov_b32 s16, 0xf8bb580b
	s_mov_b32 s17, 0xbfe14ced
	;; [unrolled: 1-line block ×20, first 2 shown]
	s_waitcnt vmcnt(9) lgkmcnt(9)
	v_mul_f64 v[147:148], v[102:103], v[46:47]
	v_mul_f64 v[149:150], v[100:101], v[46:47]
	s_waitcnt vmcnt(8) lgkmcnt(8)
	v_mul_f64 v[151:152], v[118:119], v[42:43]
	s_waitcnt vmcnt(7) lgkmcnt(7)
	v_mul_f64 v[159:160], v[110:111], v[70:71]
	v_mul_f64 v[155:156], v[116:117], v[42:43]
	v_mul_f64 v[161:162], v[108:109], v[70:71]
	s_waitcnt vmcnt(5) lgkmcnt(5)
	v_mul_f64 v[169:170], v[114:115], v[98:99]
	v_mul_f64 v[167:168], v[120:121], v[74:75]
	s_waitcnt vmcnt(1) lgkmcnt(0)
	v_mul_f64 v[185:186], v[140:141], v[82:83]
	v_mul_f64 v[189:190], v[142:143], v[82:83]
	s_waitcnt vmcnt(0)
	v_mul_f64 v[191:192], v[136:137], v[78:79]
	v_mul_f64 v[193:194], v[138:139], v[78:79]
	v_fma_f64 v[163:164], v[100:101], v[44:45], -v[147:148]
	v_fma_f64 v[179:180], v[102:103], v[44:45], v[149:150]
	v_fma_f64 v[153:154], v[116:117], v[40:41], -v[151:152]
	v_fma_f64 v[149:150], v[108:109], v[68:69], -v[159:160]
	v_fma_f64 v[116:117], v[142:143], v[80:81], v[185:186]
	v_fma_f64 v[108:109], v[140:141], v[80:81], -v[189:190]
	v_mul_f64 v[171:172], v[112:113], v[98:99]
	v_mul_f64 v[183:184], v[134:135], v[86:87]
	;; [unrolled: 1-line block ×3, first 2 shown]
	v_fma_f64 v[157:158], v[118:119], v[40:41], v[155:156]
	v_fma_f64 v[151:152], v[110:111], v[68:69], v[161:162]
	;; [unrolled: 1-line block ×3, first 2 shown]
	v_fma_f64 v[138:139], v[112:113], v[96:97], -v[169:170]
	v_fma_f64 v[112:113], v[136:137], v[76:77], -v[193:194]
	v_add_f64 v[199:200], v[179:180], -v[116:117]
	v_add_f64 v[191:192], v[163:164], -v[108:109]
	v_mul_f64 v[165:166], v[122:123], v[74:75]
	v_mul_f64 v[177:178], v[126:127], v[90:91]
	;; [unrolled: 1-line block ×3, first 2 shown]
	v_fma_f64 v[147:148], v[122:123], v[72:73], v[167:168]
	v_fma_f64 v[140:141], v[114:115], v[96:97], v[171:172]
	;; [unrolled: 1-line block ×3, first 2 shown]
	v_fma_f64 v[114:115], v[132:133], v[84:85], -v[183:184]
	v_add_f64 v[132:133], v[163:164], v[108:109]
	v_add_f64 v[193:194], v[157:158], -v[110:111]
	v_add_f64 v[205:206], v[179:180], v[116:117]
	v_add_f64 v[189:190], v[153:154], -v[112:113]
	v_mul_f64 v[159:160], v[199:200], s[16:17]
	v_mul_f64 v[167:168], v[191:192], s[16:17]
	v_mul_f64 v[173:174], v[130:131], v[94:95]
	v_mul_f64 v[175:176], v[128:129], v[94:95]
	v_fma_f64 v[142:143], v[120:121], v[72:73], -v[165:166]
	v_fma_f64 v[120:121], v[124:125], v[88:89], -v[177:178]
	v_fma_f64 v[122:123], v[126:127], v[88:89], v[181:182]
	v_add_f64 v[134:135], v[153:154], v[112:113]
	v_add_f64 v[203:204], v[157:158], v[110:111]
	v_add_f64 v[185:186], v[151:152], -v[118:119]
	v_add_f64 v[183:184], v[149:150], -v[114:115]
	v_mul_f64 v[155:156], v[193:194], s[6:7]
	v_mul_f64 v[165:166], v[189:190], s[6:7]
	v_fma_f64 v[100:101], v[132:133], s[0:1], v[159:160]
	v_fma_f64 v[102:103], v[205:206], s[0:1], -v[167:168]
	v_fma_f64 v[128:129], v[128:129], v[92:93], -v[173:174]
	v_fma_f64 v[130:131], v[130:131], v[92:93], v[175:176]
	v_add_f64 v[126:127], v[149:150], v[114:115]
	v_add_f64 v[201:202], v[151:152], v[118:119]
	v_add_f64 v[181:182], v[147:148], -v[122:123]
	v_add_f64 v[187:188], v[142:143], -v[120:121]
	v_mul_f64 v[136:137], v[185:186], s[26:27]
	v_mul_f64 v[161:162], v[183:184], s[26:27]
	v_fma_f64 v[169:170], v[134:135], s[4:5], v[155:156]
	v_fma_f64 v[173:174], v[203:204], s[4:5], -v[165:166]
	v_add_f64 v[100:101], v[104:105], v[100:101]
	v_add_f64 v[102:103], v[106:107], v[102:103]
	;; [unrolled: 1-line block ×4, first 2 shown]
	v_add_f64 v[195:196], v[140:141], -v[130:131]
	v_add_f64 v[197:198], v[138:139], -v[128:129]
	v_mul_f64 v[171:172], v[181:182], s[22:23]
	v_mul_f64 v[175:176], v[187:188], s[22:23]
	v_fma_f64 v[221:222], v[126:127], s[14:15], v[136:137]
	v_fma_f64 v[223:224], v[201:202], s[14:15], -v[161:162]
	v_add_f64 v[100:101], v[169:170], v[100:101]
	v_add_f64 v[102:103], v[173:174], v[102:103]
	;; [unrolled: 1-line block ×4, first 2 shown]
	v_mul_f64 v[173:174], v[195:196], s[24:25]
	v_mul_f64 v[177:178], v[197:198], s[24:25]
	v_fma_f64 v[225:226], v[124:125], s[18:19], v[171:172]
	v_fma_f64 v[227:228], v[207:208], s[18:19], -v[175:176]
	v_add_f64 v[100:101], v[221:222], v[100:101]
	v_add_f64 v[102:103], v[223:224], v[102:103]
	v_fma_f64 v[221:222], v[169:170], s[28:29], v[173:174]
	v_fma_f64 v[223:224], v[209:210], s[28:29], -v[177:178]
	v_add_f64 v[100:101], v[225:226], v[100:101]
	v_add_f64 v[102:103], v[227:228], v[102:103]
	;; [unrolled: 1-line block ×4, first 2 shown]
	s_and_saveexec_b64 s[20:21], vcc
	s_cbranch_execz .LBB0_5
; %bb.4:
	v_mul_f64 v[0:1], v[132:133], s[0:1]
	v_mul_f64 v[221:222], v[205:206], s[28:29]
	s_mov_b32 s35, 0x3fd207e7
	s_mov_b32 s34, s24
	v_mul_f64 v[225:226], v[203:204], s[0:1]
	s_mov_b32 s37, 0x3fe14ced
	s_mov_b32 s36, s16
	;; [unrolled: 1-line block ×3, first 2 shown]
	buffer_store_dword v0, off, s[44:47], 0 offset:92 ; 4-byte Folded Spill
	s_nop 0
	buffer_store_dword v1, off, s[44:47], 0 offset:96 ; 4-byte Folded Spill
	v_mul_f64 v[0:1], v[205:206], s[0:1]
	v_fma_f64 v[227:228], v[191:192], s[34:35], v[221:222]
	v_fma_f64 v[221:222], v[191:192], s[24:25], v[221:222]
	s_mov_b32 s38, s22
	s_mov_b32 s41, 0x3fed1bb4
	;; [unrolled: 1-line block ×3, first 2 shown]
	v_mul_f64 v[223:224], v[207:208], s[4:5]
	v_mul_f64 v[245:246], v[181:182], s[40:41]
	buffer_store_dword v0, off, s[44:47], 0 offset:116 ; 4-byte Folded Spill
	s_nop 0
	buffer_store_dword v1, off, s[44:47], 0 offset:120 ; 4-byte Folded Spill
	v_mul_f64 v[0:1], v[134:135], s[4:5]
	v_add_f64 v[227:228], v[106:107], v[227:228]
	v_add_f64 v[221:222], v[106:107], v[221:222]
	s_mov_b32 s31, 0x3fefac9e
	s_mov_b32 s30, s26
	v_add_f64 v[163:164], v[104:105], v[163:164]
	v_add_f64 v[179:180], v[106:107], v[179:180]
	buffer_store_dword v0, off, s[44:47], 0 offset:76 ; 4-byte Folded Spill
	s_nop 0
	buffer_store_dword v1, off, s[44:47], 0 offset:80 ; 4-byte Folded Spill
	v_mul_f64 v[0:1], v[203:204], s[4:5]
	buffer_store_dword v0, off, s[44:47], 0 offset:100 ; 4-byte Folded Spill
	s_nop 0
	buffer_store_dword v1, off, s[44:47], 0 offset:104 ; 4-byte Folded Spill
	v_mul_f64 v[0:1], v[126:127], s[14:15]
	v_add_f64 v[153:154], v[163:164], v[153:154]
	v_add_f64 v[157:158], v[179:180], v[157:158]
	v_mul_f64 v[179:180], v[185:186], s[34:35]
	buffer_store_dword v0, off, s[44:47], 0 offset:60 ; 4-byte Folded Spill
	s_nop 0
	buffer_store_dword v1, off, s[44:47], 0 offset:64 ; 4-byte Folded Spill
	v_mul_f64 v[0:1], v[201:202], s[14:15]
	v_add_f64 v[149:150], v[153:154], v[149:150]
	v_add_f64 v[151:152], v[157:158], v[151:152]
	;; [unrolled: 7-line block ×3, first 2 shown]
	v_mul_f64 v[151:152], v[195:196], s[36:37]
	buffer_store_dword v0, off, s[44:47], 0 offset:108 ; 4-byte Folded Spill
	s_nop 0
	buffer_store_dword v1, off, s[44:47], 0 offset:112 ; 4-byte Folded Spill
	buffer_store_dword v12, off, s[44:47], 0 offset:32 ; 4-byte Folded Spill
	s_nop 0
	buffer_store_dword v13, off, s[44:47], 0 offset:36 ; 4-byte Folded Spill
	buffer_store_dword v14, off, s[44:47], 0 offset:40 ; 4-byte Folded Spill
	;; [unrolled: 1-line block ×5, first 2 shown]
	v_mul_f64 v[0:1], v[169:170], s[28:29]
	v_mov_b32_e32 v12, v216
	v_mov_b32_e32 v13, v217
	;; [unrolled: 1-line block ×4, first 2 shown]
	v_mul_f64 v[216:217], v[193:194], s[36:37]
	v_add_f64 v[138:139], v[142:143], v[138:139]
	v_add_f64 v[140:141], v[147:148], v[140:141]
	buffer_store_dword v0, off, s[44:47], 0 offset:84 ; 4-byte Folded Spill
	s_nop 0
	buffer_store_dword v1, off, s[44:47], 0 offset:88 ; 4-byte Folded Spill
	buffer_store_dword v229, off, s[44:47], 0 ; 4-byte Folded Spill
	s_nop 0
	buffer_store_dword v230, off, s[44:47], 0 offset:4 ; 4-byte Folded Spill
	buffer_store_dword v231, off, s[44:47], 0 offset:8 ; 4-byte Folded Spill
	;; [unrolled: 1-line block ×4, first 2 shown]
	s_nop 0
	buffer_store_dword v234, off, s[44:47], 0 offset:20 ; 4-byte Folded Spill
	buffer_store_dword v235, off, s[44:47], 0 offset:24 ; 4-byte Folded Spill
	;; [unrolled: 1-line block ×3, first 2 shown]
	v_mul_f64 v[235:236], v[199:200], s[24:25]
	buffer_store_dword v239, off, s[44:47], 0 offset:56 ; 4-byte Folded Spill
	v_fma_f64 v[239:240], v[189:190], s[16:17], v[225:226]
	v_mul_f64 v[233:234], v[201:202], s[18:19]
	v_fma_f64 v[243:244], v[134:135], s[0:1], v[216:217]
	v_fma_f64 v[225:226], v[189:190], s[36:37], v[225:226]
	v_fma_f64 v[216:217], v[134:135], s[0:1], -v[216:217]
	v_mul_f64 v[229:230], v[209:210], s[14:15]
	v_fma_f64 v[249:250], v[132:133], s[28:29], v[235:236]
	v_fma_f64 v[235:236], v[132:133], s[28:29], -v[235:236]
	v_add_f64 v[227:228], v[239:240], v[227:228]
	v_mul_f64 v[239:240], v[185:186], s[22:23]
	v_fma_f64 v[247:248], v[183:184], s[38:39], v[233:234]
	v_fma_f64 v[231:232], v[187:188], s[6:7], v[223:224]
	;; [unrolled: 1-line block ×3, first 2 shown]
	v_add_f64 v[221:222], v[225:226], v[221:222]
	v_add_f64 v[249:250], v[104:105], v[249:250]
	;; [unrolled: 1-line block ×3, first 2 shown]
	v_fma_f64 v[223:224], v[187:188], s[40:41], v[223:224]
	v_fma_f64 v[251:252], v[126:127], s[18:19], v[239:240]
	v_add_f64 v[227:228], v[247:248], v[227:228]
	v_mul_f64 v[247:248], v[195:196], s[26:27]
	v_fma_f64 v[225:226], v[126:127], s[18:19], -v[239:240]
	v_add_f64 v[221:222], v[233:234], v[221:222]
	v_add_f64 v[242:243], v[243:244], v[249:250]
	;; [unrolled: 1-line block ×3, first 2 shown]
	v_fma_f64 v[235:236], v[124:125], s[4:5], v[245:246]
	v_add_f64 v[130:131], v[140:141], v[130:131]
	v_add_f64 v[227:228], v[231:232], v[227:228]
	v_fma_f64 v[231:232], v[124:125], s[4:5], -v[245:246]
	v_mul_f64 v[244:245], v[209:210], s[28:29]
	v_add_f64 v[128:129], v[138:139], v[128:129]
	v_add_f64 v[239:240], v[251:252], v[242:243]
	v_fma_f64 v[242:243], v[197:198], s[30:31], v[229:230]
	v_add_f64 v[216:217], v[225:226], v[216:217]
	v_fma_f64 v[225:226], v[169:170], s[14:15], v[247:248]
	v_fma_f64 v[229:230], v[197:198], s[26:27], v[229:230]
	v_fma_f64 v[246:247], v[169:170], s[14:15], -v[247:248]
	v_mul_f64 v[250:251], v[207:208], s[28:29]
	v_mul_f64 v[252:253], v[185:186], s[16:17]
	v_add_f64 v[233:234], v[235:236], v[239:240]
	v_mul_f64 v[235:236], v[205:206], s[18:19]
	v_add_f64 v[239:240], v[223:224], v[221:222]
	v_add_f64 v[216:217], v[231:232], v[216:217]
	;; [unrolled: 1-line block ×3, first 2 shown]
	v_mul_f64 v[231:232], v[203:204], s[14:15]
	v_add_f64 v[120:121], v[128:129], v[120:121]
	v_fma_f64 v[4:5], v[126:127], s[0:1], v[252:253]
	v_add_f64 v[221:222], v[225:226], v[233:234]
	v_mul_f64 v[233:234], v[199:200], s[22:23]
	v_fma_f64 v[242:243], v[191:192], s[38:39], v[235:236]
	v_add_f64 v[227:228], v[229:230], v[239:240]
	v_add_f64 v[225:226], v[246:247], v[216:217]
	v_mul_f64 v[216:217], v[201:202], s[0:1]
	v_mul_f64 v[239:240], v[193:194], s[30:31]
	v_fma_f64 v[246:247], v[189:190], s[26:27], v[231:232]
	v_fma_f64 v[2:3], v[191:192], s[22:23], v[235:236]
	;; [unrolled: 1-line block ×3, first 2 shown]
	v_add_f64 v[242:243], v[106:107], v[242:243]
	v_fma_f64 v[6:7], v[132:133], s[18:19], -v[233:234]
	v_fma_f64 v[231:232], v[189:190], s[30:31], v[231:232]
	v_fma_f64 v[254:255], v[183:184], s[36:37], v[216:217]
	;; [unrolled: 1-line block ×3, first 2 shown]
	v_mul_f64 v[229:230], v[209:210], s[4:5]
	v_add_f64 v[2:3], v[106:107], v[2:3]
	v_add_f64 v[235:236], v[104:105], v[248:249]
	;; [unrolled: 1-line block ×3, first 2 shown]
	v_fma_f64 v[246:247], v[187:188], s[34:35], v[250:251]
	v_mul_f64 v[248:249], v[181:182], s[24:25]
	v_fma_f64 v[239:240], v[134:135], s[14:15], -v[239:240]
	v_add_f64 v[6:7], v[104:105], v[6:7]
	v_fma_f64 v[216:217], v[183:184], s[16:17], v[216:217]
	v_add_f64 v[2:3], v[231:232], v[2:3]
	v_add_f64 v[0:1], v[0:1], v[235:236]
	;; [unrolled: 1-line block ×3, first 2 shown]
	v_fma_f64 v[218:219], v[197:198], s[6:7], v[229:230]
	v_mul_f64 v[235:236], v[195:196], s[40:41]
	v_fma_f64 v[242:243], v[124:125], s[28:29], v[248:249]
	v_fma_f64 v[252:253], v[126:127], s[0:1], -v[252:253]
	v_add_f64 v[6:7], v[239:240], v[6:7]
	v_fma_f64 v[239:240], v[187:188], s[24:25], v[250:251]
	v_add_f64 v[0:1], v[4:5], v[0:1]
	v_add_f64 v[4:5], v[246:247], v[233:234]
	v_mul_f64 v[246:247], v[205:206], s[14:15]
	v_add_f64 v[2:3], v[216:217], v[2:3]
	v_fma_f64 v[233:234], v[169:170], s[4:5], v[235:236]
	v_mul_f64 v[205:206], v[205:206], s[4:5]
	v_add_f64 v[6:7], v[252:253], v[6:7]
	v_mul_f64 v[252:253], v[185:186], s[40:41]
	v_add_f64 v[0:1], v[242:243], v[0:1]
	v_add_f64 v[231:232], v[218:219], v[4:5]
	v_mul_f64 v[4:5], v[203:204], s[28:29]
	v_fma_f64 v[216:217], v[191:192], s[30:31], v[246:247]
	v_fma_f64 v[218:219], v[124:125], s[28:29], -v[248:249]
	v_fma_f64 v[242:243], v[197:198], s[40:41], v[229:230]
	v_add_f64 v[2:3], v[239:240], v[2:3]
	v_fma_f64 v[239:240], v[169:170], s[4:5], -v[235:236]
	v_add_f64 v[229:230], v[233:234], v[0:1]
	v_mul_f64 v[0:1], v[201:202], s[4:5]
	v_fma_f64 v[233:234], v[189:190], s[24:25], v[4:5]
	v_add_f64 v[216:217], v[106:107], v[216:217]
	v_add_f64 v[6:7], v[218:219], v[6:7]
	v_fma_f64 v[246:247], v[191:192], s[26:27], v[246:247]
	v_add_f64 v[235:236], v[242:243], v[2:3]
	v_mul_f64 v[2:3], v[199:200], s[26:27]
	v_mul_f64 v[218:219], v[207:208], s[0:1]
	v_fma_f64 v[242:243], v[183:184], s[6:7], v[0:1]
	v_fma_f64 v[4:5], v[189:190], s[34:35], v[4:5]
	v_add_f64 v[216:217], v[233:234], v[216:217]
	v_add_f64 v[233:234], v[239:240], v[6:7]
	v_mul_f64 v[239:240], v[193:194], s[34:35]
	v_add_f64 v[246:247], v[106:107], v[246:247]
	v_fma_f64 v[250:251], v[132:133], s[14:15], v[2:3]
	v_mul_f64 v[248:249], v[209:210], s[18:19]
	v_fma_f64 v[6:7], v[187:188], s[36:37], v[218:219]
	v_fma_f64 v[2:3], v[132:133], s[14:15], -v[2:3]
	v_add_f64 v[216:217], v[242:243], v[216:217]
	v_fma_f64 v[0:1], v[183:184], s[40:41], v[0:1]
	v_fma_f64 v[254:255], v[134:135], s[28:29], v[239:240]
	v_add_f64 v[4:5], v[4:5], v[246:247]
	v_add_f64 v[250:251], v[104:105], v[250:251]
	v_fma_f64 v[242:243], v[197:198], s[38:39], v[248:249]
	v_fma_f64 v[246:247], v[134:135], s[28:29], -v[239:240]
	v_add_f64 v[2:3], v[104:105], v[2:3]
	v_add_f64 v[6:7], v[6:7], v[216:217]
	v_fma_f64 v[8:9], v[126:127], s[4:5], v[252:253]
	v_fma_f64 v[218:219], v[187:188], s[16:17], v[218:219]
	v_add_f64 v[0:1], v[0:1], v[4:5]
	v_add_f64 v[10:11], v[254:255], v[250:251]
	v_mul_f64 v[216:217], v[181:182], s[16:17]
	v_mul_f64 v[199:200], v[199:200], s[6:7]
	v_add_f64 v[2:3], v[246:247], v[2:3]
	v_add_f64 v[239:240], v[242:243], v[6:7]
	v_fma_f64 v[6:7], v[126:127], s[4:5], -v[252:253]
	v_mul_f64 v[193:194], v[193:194], s[22:23]
	v_add_f64 v[0:1], v[218:219], v[0:1]
	v_add_f64 v[8:9], v[8:9], v[10:11]
	v_fma_f64 v[10:11], v[197:198], s[22:23], v[248:249]
	v_fma_f64 v[242:243], v[124:125], s[0:1], v[216:217]
	v_fma_f64 v[216:217], v[124:125], s[0:1], -v[216:217]
	v_fma_f64 v[246:247], v[132:133], s[4:5], v[199:200]
	v_add_f64 v[2:3], v[6:7], v[2:3]
	v_mul_f64 v[6:7], v[209:210], s[0:1]
	v_mul_f64 v[209:210], v[203:204], s[18:19]
	v_fma_f64 v[185:186], v[134:135], s[18:19], v[193:194]
	v_add_f64 v[203:204], v[10:11], v[0:1]
	v_fma_f64 v[0:1], v[191:192], s[40:41], v[205:206]
	v_fma_f64 v[191:192], v[191:192], s[6:7], v[205:206]
	v_fma_f64 v[132:133], v[132:133], s[4:5], -v[199:200]
	v_add_f64 v[2:3], v[216:217], v[2:3]
	v_mul_f64 v[237:238], v[207:208], s[18:19]
	v_fma_f64 v[216:217], v[189:190], s[38:39], v[209:210]
	v_fma_f64 v[189:190], v[189:190], s[22:23], v[209:210]
	v_fma_f64 v[134:135], v[134:135], s[18:19], -v[193:194]
	v_add_f64 v[0:1], v[106:107], v[0:1]
	v_add_f64 v[163:164], v[106:107], v[191:192]
	;; [unrolled: 1-line block ×5, first 2 shown]
	v_mul_f64 v[201:202], v[201:202], s[28:29]
	v_mul_f64 v[10:11], v[207:208], s[14:15]
	v_add_f64 v[8:9], v[242:243], v[8:9]
	v_add_f64 v[0:1], v[216:217], v[0:1]
	;; [unrolled: 1-line block ×3, first 2 shown]
	v_fma_f64 v[163:164], v[126:127], s[28:29], v[179:180]
	v_add_f64 v[181:182], v[185:186], v[191:192]
	v_add_f64 v[118:119], v[122:123], v[118:119]
	v_fma_f64 v[205:206], v[183:184], s[24:25], v[201:202]
	v_fma_f64 v[183:184], v[183:184], s[34:35], v[201:202]
	v_fma_f64 v[126:127], v[126:127], s[28:29], -v[179:180]
	v_fma_f64 v[242:243], v[187:188], s[26:27], v[10:11]
	v_fma_f64 v[10:11], v[187:188], s[30:31], v[10:11]
	v_mul_f64 v[4:5], v[195:196], s[22:23]
	v_add_f64 v[163:164], v[163:164], v[181:182]
	buffer_load_dword v181, off, s[44:47], 0 offset:116 ; 4-byte Folded Reload
	buffer_load_dword v182, off, s[44:47], 0 offset:120 ; 4-byte Folded Reload
	;; [unrolled: 1-line block ×8, first 2 shown]
	v_add_f64 v[149:150], v[183:184], v[153:154]
	v_fma_f64 v[153:154], v[124:125], s[14:15], v[157:158]
	v_fma_f64 v[124:125], v[124:125], s[14:15], -v[157:158]
	v_add_f64 v[0:1], v[205:206], v[0:1]
	v_add_f64 v[110:111], v[118:119], v[110:111]
	;; [unrolled: 1-line block ×3, first 2 shown]
	v_fma_f64 v[207:208], v[197:198], s[16:17], v[6:7]
	v_fma_f64 v[6:7], v[197:198], s[36:37], v[6:7]
	v_add_f64 v[10:11], v[10:11], v[149:150]
	v_fma_f64 v[218:219], v[169:170], s[18:19], v[4:5]
	v_fma_f64 v[4:5], v[169:170], s[18:19], -v[4:5]
	v_add_f64 v[0:1], v[242:243], v[0:1]
	v_add_f64 v[110:111], v[110:111], v[116:117]
	;; [unrolled: 1-line block ×4, first 2 shown]
	s_waitcnt vmcnt(6)
	v_add_f64 v[167:168], v[167:168], v[181:182]
	s_waitcnt vmcnt(4)
	v_add_f64 v[142:143], v[142:143], -v[159:160]
	s_waitcnt vmcnt(2)
	v_add_f64 v[147:148], v[165:166], v[147:148]
	s_waitcnt vmcnt(0)
	v_add_f64 v[138:139], v[138:139], -v[155:156]
	v_add_f64 v[106:107], v[106:107], v[167:168]
	v_add_f64 v[140:141], v[104:105], v[142:143]
	;; [unrolled: 1-line block ×3, first 2 shown]
	buffer_load_dword v132, off, s[44:47], 0 offset:68 ; 4-byte Folded Reload
	buffer_load_dword v133, off, s[44:47], 0 offset:72 ; 4-byte Folded Reload
	;; [unrolled: 1-line block ×6, first 2 shown]
	v_add_f64 v[106:107], v[147:148], v[106:107]
	v_add_f64 v[130:131], v[138:139], v[140:141]
	;; [unrolled: 1-line block ×5, first 2 shown]
	v_mov_b32_e32 v219, v15
	v_mov_b32_e32 v218, v14
	;; [unrolled: 1-line block ×4, first 2 shown]
	v_add_f64 v[104:105], v[126:127], v[104:105]
	v_fma_f64 v[126:127], v[169:170], s[0:1], -v[151:152]
	v_add_f64 v[104:105], v[124:125], v[104:105]
	v_add_f64 v[124:125], v[153:154], v[163:164]
	;; [unrolled: 1-line block ×3, first 2 shown]
	s_waitcnt vmcnt(4)
	v_add_f64 v[132:133], v[161:162], v[132:133]
	s_waitcnt vmcnt(2)
	v_add_f64 v[128:129], v[128:129], -v[136:137]
	s_waitcnt vmcnt(0)
	v_add_f64 v[120:121], v[120:121], -v[171:172]
	v_add_f64 v[106:107], v[132:133], v[106:107]
	v_add_f64 v[122:123], v[128:129], v[130:131]
	;; [unrolled: 1-line block ×4, first 2 shown]
	buffer_load_dword v106, off, s[44:47], 0 offset:84 ; 4-byte Folded Reload
	buffer_load_dword v107, off, s[44:47], 0 offset:88 ; 4-byte Folded Reload
	v_add_f64 v[120:121], v[120:121], v[122:123]
	ds_write_b128 v212, v[108:111]
	v_fma_f64 v[122:123], v[169:170], s[0:1], v[151:152]
	v_add_f64 v[114:115], v[128:129], v[130:131]
	v_add_f64 v[116:117], v[122:123], v[124:125]
	s_waitcnt vmcnt(0)
	v_add_f64 v[118:119], v[106:107], -v[173:174]
	v_add_f64 v[106:107], v[6:7], v[10:11]
	v_add_f64 v[112:113], v[118:119], v[120:121]
	v_add_f64 v[118:119], v[207:208], v[0:1]
	v_lshl_add_u32 v0, v211, 4, v213
	ds_write_b128 v0, v[112:115] offset:320
	ds_write_b128 v0, v[104:107] offset:640
	;; [unrolled: 1-line block ×4, first 2 shown]
	buffer_load_dword v233, off, s[44:47], 0 offset:16 ; 4-byte Folded Reload
	buffer_load_dword v234, off, s[44:47], 0 offset:20 ; 4-byte Folded Reload
	;; [unrolled: 1-line block ×4, first 2 shown]
	ds_write_b128 v0, v[225:228] offset:1600
	ds_write_b128 v0, v[221:224] offset:1920
	;; [unrolled: 1-line block ×3, first 2 shown]
	buffer_load_dword v229, off, s[44:47], 0 ; 4-byte Folded Reload
	buffer_load_dword v230, off, s[44:47], 0 offset:4 ; 4-byte Folded Reload
	buffer_load_dword v231, off, s[44:47], 0 offset:8 ; 4-byte Folded Reload
	buffer_load_dword v232, off, s[44:47], 0 offset:12 ; 4-byte Folded Reload
	ds_write_b128 v0, v[237:240] offset:2560
	buffer_load_dword v239, off, s[44:47], 0 offset:56 ; 4-byte Folded Reload
	buffer_load_dword v238, off, s[44:47], 0 offset:52 ; 4-byte Folded Reload
	;; [unrolled: 1-line block ×7, first 2 shown]
	ds_write_b128 v0, v[116:119] offset:2880
	ds_write_b128 v0, v[100:103] offset:3200
.LBB0_5:
	s_or_b64 exec, exec, s[20:21]
	s_waitcnt vmcnt(0) lgkmcnt(0)
	s_barrier
	global_load_dwordx4 v[104:107], v[145:146], off offset:3520
	s_add_u32 s0, s12, 0xdc0
	s_addc_u32 s1, s13, 0
	global_load_dwordx4 v[108:111], v214, s[0:1] offset:352
	global_load_dwordx4 v[112:115], v214, s[0:1] offset:704
	;; [unrolled: 1-line block ×9, first 2 shown]
	ds_read_b128 v[145:148], v212
	ds_read_b128 v[149:152], v212 offset:352
	ds_read_b128 v[153:156], v212 offset:704
	;; [unrolled: 1-line block ×9, first 2 shown]
	s_mov_b32 s14, 0x134454ff
	s_mov_b32 s15, 0xbfee6f0e
	s_mov_b32 s5, 0x3fee6f0e
	s_mov_b32 s4, s14
	s_mov_b32 s12, 0x4755a5e
	s_mov_b32 s13, 0xbfe2cf23
	s_mov_b32 s7, 0x3fe2cf23
	s_mov_b32 s6, s12
	s_mov_b32 s0, 0x372fe950
	s_mov_b32 s1, 0x3fd3c6ef
	s_mov_b32 s16, 0x9b97f4a8
	s_mov_b32 s17, 0x3fe9e377
	s_waitcnt vmcnt(8) lgkmcnt(8)
	v_mul_f64 v[4:5], v[151:152], v[110:111]
	v_mul_f64 v[6:7], v[149:150], v[110:111]
	s_waitcnt vmcnt(7) lgkmcnt(7)
	v_mul_f64 v[8:9], v[155:156], v[114:115]
	v_mul_f64 v[10:11], v[153:154], v[114:115]
	;; [unrolled: 3-line block ×3, first 2 shown]
	v_mul_f64 v[2:3], v[145:146], v[106:107]
	v_mul_f64 v[118:119], v[157:158], v[118:119]
	s_waitcnt vmcnt(5) lgkmcnt(5)
	v_mul_f64 v[185:186], v[163:164], v[122:123]
	v_mul_f64 v[122:123], v[161:162], v[122:123]
	s_waitcnt vmcnt(4) lgkmcnt(4)
	;; [unrolled: 3-line block ×6, first 2 shown]
	v_mul_f64 v[195:196], v[183:184], v[142:143]
	v_mul_f64 v[142:143], v[181:182], v[142:143]
	v_fma_f64 v[145:146], v[145:146], v[104:105], -v[0:1]
	v_fma_f64 v[147:148], v[147:148], v[104:105], v[2:3]
	v_fma_f64 v[104:105], v[149:150], v[108:109], -v[4:5]
	v_fma_f64 v[106:107], v[151:152], v[108:109], v[6:7]
	;; [unrolled: 2-line block ×10, first 2 shown]
	ds_write_b128 v212, v[145:148]
	ds_write_b128 v212, v[104:107] offset:352
	ds_write_b128 v212, v[108:111] offset:704
	;; [unrolled: 1-line block ×9, first 2 shown]
	s_waitcnt lgkmcnt(0)
	s_barrier
	ds_read_b128 v[104:107], v212
	ds_read_b128 v[108:111], v212 offset:352
	ds_read_b128 v[112:115], v212 offset:704
	ds_read_b128 v[116:119], v212 offset:1056
	ds_read_b128 v[120:123], v212 offset:1408
	ds_read_b128 v[124:127], v212 offset:1760
	ds_read_b128 v[128:131], v212 offset:2112
	ds_read_b128 v[132:135], v212 offset:2816
	ds_read_b128 v[136:139], v212 offset:2464
	ds_read_b128 v[140:143], v212 offset:3168
	s_waitcnt lgkmcnt(5)
	v_add_f64 v[8:9], v[112:113], -v[120:121]
	s_waitcnt lgkmcnt(3)
	v_add_f64 v[2:3], v[120:121], v[128:129]
	s_waitcnt lgkmcnt(2)
	v_add_f64 v[4:5], v[114:115], -v[134:135]
	v_add_f64 v[10:11], v[132:133], -v[128:129]
	v_add_f64 v[145:146], v[112:113], v[132:133]
	v_add_f64 v[0:1], v[104:105], v[112:113]
	;; [unrolled: 1-line block ×3, first 2 shown]
	v_add_f64 v[6:7], v[122:123], -v[130:131]
	v_add_f64 v[151:152], v[106:107], v[114:115]
	v_fma_f64 v[2:3], v[2:3], -0.5, v[104:105]
	v_add_f64 v[147:148], v[120:121], -v[112:113]
	v_add_f64 v[8:9], v[8:9], v[10:11]
	v_fma_f64 v[104:105], v[145:146], -0.5, v[104:105]
	;; [unrolled: 3-line block ×3, first 2 shown]
	v_add_f64 v[149:150], v[128:129], -v[132:133]
	v_fma_f64 v[10:11], v[4:5], s[14:15], v[2:3]
	v_fma_f64 v[2:3], v[4:5], s[4:5], v[2:3]
	v_add_f64 v[155:156], v[120:121], -v[128:129]
	v_fma_f64 v[120:121], v[6:7], s[4:5], v[104:105]
	v_add_f64 v[151:152], v[151:152], v[122:123]
	v_fma_f64 v[104:105], v[6:7], s[14:15], v[104:105]
	v_add_f64 v[145:146], v[114:115], -v[122:123]
	v_add_f64 v[157:158], v[134:135], -v[130:131]
	v_fma_f64 v[10:11], v[6:7], s[12:13], v[10:11]
	v_fma_f64 v[2:3], v[6:7], s[6:7], v[2:3]
	v_add_f64 v[159:160], v[114:115], v[134:135]
	v_add_f64 v[0:1], v[0:1], v[128:129]
	v_fma_f64 v[128:129], v[112:113], s[4:5], v[153:154]
	v_add_f64 v[147:148], v[147:148], v[149:150]
	v_fma_f64 v[6:7], v[4:5], s[12:13], v[120:121]
	;; [unrolled: 2-line block ×3, first 2 shown]
	v_fma_f64 v[4:5], v[4:5], s[6:7], v[104:105]
	v_fma_f64 v[10:11], v[8:9], s[0:1], v[10:11]
	;; [unrolled: 1-line block ×3, first 2 shown]
	s_waitcnt lgkmcnt(1)
	v_add_f64 v[8:9], v[124:125], v[136:137]
	v_fma_f64 v[104:105], v[155:156], s[6:7], v[128:129]
	v_add_f64 v[128:129], v[145:146], v[157:158]
	v_fma_f64 v[106:107], v[159:160], -0.5, v[106:107]
	v_add_f64 v[0:1], v[0:1], v[132:133]
	v_fma_f64 v[6:7], v[147:148], s[0:1], v[6:7]
	v_fma_f64 v[132:133], v[155:156], s[12:13], v[149:150]
	;; [unrolled: 1-line block ×3, first 2 shown]
	v_add_f64 v[145:146], v[120:121], v[134:135]
	v_add_f64 v[120:121], v[108:109], v[116:117]
	v_fma_f64 v[8:9], v[8:9], -0.5, v[108:109]
	s_waitcnt lgkmcnt(0)
	v_add_f64 v[147:148], v[118:119], -v[142:143]
	v_fma_f64 v[149:150], v[128:129], s[0:1], v[104:105]
	v_fma_f64 v[104:105], v[155:156], s[14:15], v[106:107]
	v_add_f64 v[114:115], v[122:123], -v[114:115]
	v_add_f64 v[122:123], v[130:131], -v[134:135]
	v_fma_f64 v[151:152], v[128:129], s[0:1], v[132:133]
	v_fma_f64 v[106:107], v[155:156], s[4:5], v[106:107]
	v_add_f64 v[120:121], v[120:121], v[124:125]
	v_fma_f64 v[128:129], v[147:148], s[14:15], v[8:9]
	v_add_f64 v[130:131], v[126:127], -v[138:139]
	v_add_f64 v[132:133], v[116:117], -v[124:125]
	v_add_f64 v[134:135], v[140:141], -v[136:137]
	v_add_f64 v[155:156], v[126:127], v[138:139]
	v_fma_f64 v[104:105], v[112:113], s[6:7], v[104:105]
	v_add_f64 v[114:115], v[114:115], v[122:123]
	v_add_f64 v[153:154], v[116:117], v[140:141]
	v_fma_f64 v[106:107], v[112:113], s[12:13], v[106:107]
	v_add_f64 v[112:113], v[120:121], v[136:137]
	v_fma_f64 v[120:121], v[130:131], s[12:13], v[128:129]
	v_add_f64 v[122:123], v[132:133], v[134:135]
	v_fma_f64 v[128:129], v[155:156], -0.5, v[110:111]
	v_add_f64 v[132:133], v[116:117], -v[140:141]
	v_fma_f64 v[134:135], v[114:115], s[0:1], v[104:105]
	v_add_f64 v[104:105], v[118:119], v[142:143]
	v_fma_f64 v[108:109], v[153:154], -0.5, v[108:109]
	v_fma_f64 v[8:9], v[147:148], s[4:5], v[8:9]
	v_fma_f64 v[153:154], v[114:115], s[0:1], v[106:107]
	v_add_f64 v[155:156], v[112:113], v[140:141]
	v_fma_f64 v[112:113], v[122:123], s[0:1], v[120:121]
	v_fma_f64 v[114:115], v[132:133], s[4:5], v[128:129]
	v_add_f64 v[120:121], v[124:125], -v[136:137]
	v_add_f64 v[157:158], v[118:119], -v[126:127]
	v_add_f64 v[159:160], v[142:143], -v[138:139]
	v_fma_f64 v[104:105], v[104:105], -0.5, v[110:111]
	v_add_f64 v[110:111], v[110:111], v[118:119]
	v_fma_f64 v[106:107], v[130:131], s[4:5], v[108:109]
	v_fma_f64 v[8:9], v[130:131], s[6:7], v[8:9]
	v_add_f64 v[116:117], v[124:125], -v[116:117]
	v_add_f64 v[124:125], v[136:137], -v[140:141]
	v_fma_f64 v[108:109], v[130:131], s[14:15], v[108:109]
	v_fma_f64 v[114:115], v[120:121], s[6:7], v[114:115]
	v_add_f64 v[130:131], v[157:158], v[159:160]
	v_fma_f64 v[136:137], v[120:121], s[14:15], v[104:105]
	v_add_f64 v[118:119], v[126:127], -v[118:119]
	v_add_f64 v[140:141], v[138:139], -v[142:143]
	v_fma_f64 v[104:105], v[120:121], s[4:5], v[104:105]
	v_add_f64 v[110:111], v[110:111], v[126:127]
	v_fma_f64 v[126:127], v[132:133], s[14:15], v[128:129]
	v_fma_f64 v[106:107], v[147:148], s[12:13], v[106:107]
	v_add_f64 v[116:117], v[116:117], v[124:125]
	v_fma_f64 v[108:109], v[147:148], s[6:7], v[108:109]
	v_fma_f64 v[114:115], v[130:131], s[0:1], v[114:115]
	;; [unrolled: 1-line block ×3, first 2 shown]
	v_add_f64 v[118:119], v[118:119], v[140:141]
	v_fma_f64 v[104:105], v[132:133], s[12:13], v[104:105]
	v_add_f64 v[110:111], v[110:111], v[138:139]
	v_fma_f64 v[120:121], v[120:121], s[12:13], v[126:127]
	v_fma_f64 v[106:107], v[116:117], s[0:1], v[106:107]
	;; [unrolled: 1-line block ×3, first 2 shown]
	v_mul_f64 v[108:109], v[114:115], s[12:13]
	v_fma_f64 v[8:9], v[122:123], s[0:1], v[8:9]
	v_fma_f64 v[122:123], v[118:119], s[0:1], v[124:125]
	v_fma_f64 v[118:119], v[118:119], s[0:1], v[104:105]
	v_add_f64 v[126:127], v[110:111], v[142:143]
	v_fma_f64 v[110:111], v[130:131], s[0:1], v[120:121]
	v_add_f64 v[104:105], v[0:1], v[155:156]
	v_fma_f64 v[128:129], v[112:113], s[16:17], v[108:109]
	v_mul_f64 v[112:113], v[112:113], s[6:7]
	v_mul_f64 v[108:109], v[122:123], s[14:15]
	v_mul_f64 v[120:121], v[118:119], s[14:15]
	s_mov_b32 s15, 0xbfd3c6ef
	s_mov_b32 s14, s0
	v_mul_f64 v[122:123], v[122:123], s[0:1]
	v_mul_f64 v[124:125], v[110:111], s[12:13]
	s_mov_b32 s13, 0xbfe9e377
	s_mov_b32 s12, s16
	v_mul_f64 v[118:119], v[118:119], s[14:15]
	v_mul_f64 v[110:111], v[110:111], s[12:13]
	v_fma_f64 v[142:143], v[114:115], s[16:17], v[112:113]
	v_fma_f64 v[130:131], v[106:107], s[0:1], v[108:109]
	;; [unrolled: 1-line block ×5, first 2 shown]
	v_add_f64 v[106:107], v[145:146], v[126:127]
	v_fma_f64 v[157:158], v[116:117], s[4:5], v[118:119]
	v_fma_f64 v[8:9], v[8:9], s[6:7], v[110:111]
	v_add_f64 v[108:109], v[10:11], v[128:129]
	v_add_f64 v[110:111], v[149:150], v[142:143]
	;; [unrolled: 1-line block ×8, first 2 shown]
	v_add_f64 v[124:125], v[0:1], -v[155:156]
	v_add_f64 v[126:127], v[145:146], -v[126:127]
	;; [unrolled: 1-line block ×10, first 2 shown]
	s_barrier
	ds_write_b128 v215, v[104:107]
	ds_write_b128 v215, v[108:111] offset:16
	ds_write_b128 v215, v[112:115] offset:32
	;; [unrolled: 1-line block ×9, first 2 shown]
	s_waitcnt lgkmcnt(0)
	s_barrier
	ds_read_b128 v[104:107], v212 offset:1760
	ds_read_b128 v[108:111], v212
	ds_read_b128 v[116:119], v212 offset:352
	ds_read_b128 v[112:115], v212 offset:2112
	;; [unrolled: 1-line block ×4, first 2 shown]
	s_waitcnt lgkmcnt(5)
	v_mul_f64 v[0:1], v[54:55], v[106:107]
	v_mul_f64 v[2:3], v[54:55], v[104:105]
	s_waitcnt lgkmcnt(2)
	v_mul_f64 v[4:5], v[50:51], v[114:115]
	v_mul_f64 v[6:7], v[50:51], v[112:113]
	ds_read_b128 v[128:131], v212 offset:704
	ds_read_b128 v[132:135], v212 offset:1056
	;; [unrolled: 1-line block ×4, first 2 shown]
	s_waitcnt lgkmcnt(5)
	v_mul_f64 v[8:9], v[58:59], v[122:123]
	v_mul_f64 v[10:11], v[58:59], v[120:121]
	s_waitcnt lgkmcnt(0)
	v_fma_f64 v[0:1], v[52:53], v[104:105], v[0:1]
	v_fma_f64 v[2:3], v[52:53], v[106:107], -v[2:3]
	v_fma_f64 v[4:5], v[48:49], v[112:113], v[4:5]
	v_fma_f64 v[6:7], v[48:49], v[114:115], -v[6:7]
	v_mul_f64 v[48:49], v[62:63], v[138:139]
	v_mul_f64 v[50:51], v[62:63], v[136:137]
	;; [unrolled: 1-line block ×4, first 2 shown]
	v_add_f64 v[52:53], v[108:109], -v[0:1]
	v_add_f64 v[54:55], v[110:111], -v[2:3]
	v_fma_f64 v[0:1], v[56:57], v[120:121], v[8:9]
	v_fma_f64 v[2:3], v[56:57], v[122:123], -v[10:11]
	v_fma_f64 v[8:9], v[60:61], v[136:137], v[48:49]
	v_fma_f64 v[10:11], v[60:61], v[138:139], -v[50:51]
	;; [unrolled: 2-line block ×3, first 2 shown]
	v_add_f64 v[60:61], v[116:117], -v[4:5]
	v_add_f64 v[62:63], v[118:119], -v[6:7]
	;; [unrolled: 1-line block ×8, first 2 shown]
	v_fma_f64 v[48:49], v[108:109], 2.0, -v[52:53]
	v_fma_f64 v[50:51], v[110:111], 2.0, -v[54:55]
	v_fma_f64 v[56:57], v[116:117], 2.0, -v[60:61]
	v_fma_f64 v[58:59], v[118:119], 2.0, -v[62:63]
	v_fma_f64 v[108:109], v[128:129], 2.0, -v[104:105]
	v_fma_f64 v[110:111], v[130:131], 2.0, -v[106:107]
	v_fma_f64 v[120:121], v[132:133], 2.0, -v[112:113]
	v_fma_f64 v[122:123], v[134:135], 2.0, -v[114:115]
	v_fma_f64 v[116:117], v[124:125], 2.0, -v[64:65]
	v_fma_f64 v[118:119], v[126:127], 2.0, -v[66:67]
	s_barrier
	ds_write_b128 v237, v[48:51]
	ds_write_b128 v237, v[52:55] offset:160
	ds_write_b128 v238, v[56:59]
	ds_write_b128 v238, v[60:63] offset:160
	;; [unrolled: 2-line block ×5, first 2 shown]
	s_waitcnt lgkmcnt(0)
	s_barrier
	s_and_saveexec_b64 s[0:1], vcc
	s_cbranch_execz .LBB0_7
; %bb.6:
	ds_read_b128 v[48:51], v212
	ds_read_b128 v[52:55], v212 offset:320
	ds_read_b128 v[56:59], v212 offset:640
	;; [unrolled: 1-line block ×10, first 2 shown]
.LBB0_7:
	s_or_b64 exec, exec, s[0:1]
	s_and_saveexec_b64 s[0:1], vcc
	s_cbranch_execz .LBB0_9
; %bb.8:
	s_waitcnt lgkmcnt(4)
	v_mul_f64 v[2:3], v[94:95], v[122:123]
	v_mul_f64 v[0:1], v[98:99], v[106:107]
	;; [unrolled: 1-line block ×5, first 2 shown]
	s_waitcnt lgkmcnt(3)
	v_mul_f64 v[10:11], v[90:91], v[114:115]
	s_mov_b32 s20, 0xfd768dbf
	s_mov_b32 s21, 0xbfd207e7
	v_fma_f64 v[94:95], v[92:93], v[120:121], v[2:3]
	v_mul_f64 v[2:3], v[90:91], v[112:113]
	v_fma_f64 v[98:99], v[96:97], v[104:105], v[0:1]
	v_fma_f64 v[96:97], v[96:97], v[106:107], -v[4:5]
	v_fma_f64 v[90:91], v[92:93], v[122:123], -v[6:7]
	v_mul_f64 v[4:5], v[70:71], v[62:63]
	v_mul_f64 v[0:1], v[74:75], v[108:109]
	v_fma_f64 v[104:105], v[72:73], v[108:109], v[8:9]
	v_fma_f64 v[74:75], v[88:89], v[112:113], v[10:11]
	v_fma_f64 v[92:93], v[88:89], v[114:115], -v[2:3]
	v_mul_f64 v[2:3], v[70:71], v[60:61]
	s_waitcnt lgkmcnt(2)
	v_mul_f64 v[6:7], v[86:87], v[118:119]
	v_mul_f64 v[8:9], v[46:47], v[54:55]
	v_fma_f64 v[112:113], v[68:69], v[60:61], v[4:5]
	v_mul_f64 v[4:5], v[86:87], v[116:117]
	s_waitcnt lgkmcnt(0)
	v_mul_f64 v[10:11], v[82:83], v[102:103]
	s_mov_b32 s26, 0xf8bb580b
	s_mov_b32 s18, 0x9bcd5057
	v_fma_f64 v[68:69], v[68:69], v[62:63], -v[2:3]
	v_mul_f64 v[2:3], v[42:43], v[58:59]
	v_fma_f64 v[88:89], v[84:85], v[116:117], v[6:7]
	v_mul_f64 v[116:117], v[46:47], v[52:53]
	v_fma_f64 v[62:63], v[84:85], v[118:119], -v[4:5]
	v_mul_f64 v[4:5], v[78:79], v[66:67]
	v_mul_f64 v[118:119], v[82:83], v[100:101]
	v_fma_f64 v[46:47], v[80:81], v[100:101], v[10:11]
	s_mov_b32 s27, 0x3fe14ced
	v_fma_f64 v[82:83], v[40:41], v[56:57], v[2:3]
	v_fma_f64 v[2:3], v[44:45], v[52:53], v[8:9]
	v_mul_f64 v[8:9], v[78:79], v[64:65]
	v_fma_f64 v[10:11], v[44:45], v[54:55], -v[116:117]
	v_fma_f64 v[70:71], v[76:77], v[64:65], v[4:5]
	v_mul_f64 v[4:5], v[42:43], v[56:57]
	v_fma_f64 v[44:45], v[80:81], v[102:103], -v[118:119]
	s_mov_b32 s19, 0xbfeeb42a
	v_add_f64 v[86:87], v[112:113], -v[88:89]
	v_add_f64 v[118:119], v[2:3], -v[46:47]
	v_fma_f64 v[52:53], v[76:77], v[66:67], -v[8:9]
	v_add_f64 v[122:123], v[2:3], v[46:47]
	v_add_f64 v[80:81], v[82:83], -v[70:71]
	v_fma_f64 v[4:5], v[40:41], v[58:59], -v[4:5]
	v_add_f64 v[8:9], v[10:11], -v[44:45]
	v_add_f64 v[58:59], v[10:11], v[44:45]
	s_mov_b32 s14, 0xbb3a28a1
	v_mul_f64 v[40:41], v[118:119], s[20:21]
	s_mov_b32 s22, 0x8764f0ba
	s_mov_b32 s15, 0xbfe82f19
	v_mul_f64 v[42:43], v[80:81], s[26:27]
	v_add_f64 v[120:121], v[4:5], -v[52:53]
	v_mul_f64 v[54:55], v[8:9], s[20:21]
	v_add_f64 v[124:125], v[4:5], v[52:53]
	s_mov_b32 s23, 0x3feaeb8c
	v_fma_f64 v[56:57], v[58:59], s[18:19], v[40:41]
	v_fma_f64 v[108:109], v[72:73], v[110:111], -v[0:1]
	v_add_f64 v[110:111], v[104:105], -v[74:75]
	v_mul_f64 v[114:115], v[86:87], s[14:15]
	v_add_f64 v[84:85], v[68:69], v[62:63]
	v_add_f64 v[126:127], v[68:69], -v[62:63]
	v_add_f64 v[128:129], v[82:83], v[70:71]
	v_mul_f64 v[64:65], v[120:121], s[26:27]
	v_fma_f64 v[66:67], v[122:123], s[18:19], -v[54:55]
	v_fma_f64 v[76:77], v[124:125], s[22:23], v[42:43]
	v_add_f64 v[56:57], v[50:51], v[56:57]
	s_mov_b32 s16, 0x7f775887
	s_mov_b32 s7, 0x3fed1bb4
	;; [unrolled: 1-line block ×4, first 2 shown]
	v_add_f64 v[106:107], v[98:99], -v[94:95]
	v_mul_f64 v[6:7], v[110:111], s[6:7]
	v_add_f64 v[60:61], v[108:109], v[92:93]
	v_add_f64 v[130:131], v[108:109], -v[92:93]
	v_add_f64 v[132:133], v[112:113], v[88:89]
	v_mul_f64 v[78:79], v[126:127], s[14:15]
	v_fma_f64 v[100:101], v[128:129], s[22:23], -v[64:65]
	v_add_f64 v[66:67], v[48:49], v[66:67]
	v_fma_f64 v[102:103], v[84:85], s[16:17], v[114:115]
	v_fma_f64 v[40:41], v[58:59], s[18:19], -v[40:41]
	v_add_f64 v[56:57], v[76:77], v[56:57]
	s_mov_b32 s4, 0x43842ef
	s_mov_b32 s12, 0xd9c712b6
	;; [unrolled: 1-line block ×4, first 2 shown]
	v_add_f64 v[72:73], v[96:97], v[90:91]
	v_mul_f64 v[0:1], v[106:107], s[4:5]
	v_add_f64 v[134:135], v[96:97], -v[90:91]
	v_add_f64 v[136:137], v[104:105], v[74:75]
	v_mul_f64 v[76:77], v[130:131], s[6:7]
	v_fma_f64 v[116:117], v[132:133], s[16:17], -v[78:79]
	v_add_f64 v[66:67], v[100:101], v[66:67]
	v_fma_f64 v[42:43], v[124:125], s[22:23], -v[42:43]
	v_add_f64 v[40:41], v[50:51], v[40:41]
	v_fma_f64 v[100:101], v[60:61], s[12:13], v[6:7]
	v_add_f64 v[56:57], v[102:103], v[56:57]
	s_mov_b32 s24, 0x640f44db
	s_mov_b32 s25, 0xbfc2375f
	v_add_f64 v[138:139], v[98:99], v[94:95]
	v_mul_f64 v[102:103], v[134:135], s[4:5]
	v_fma_f64 v[140:141], v[136:137], s[12:13], -v[76:77]
	v_add_f64 v[66:67], v[116:117], v[66:67]
	v_fma_f64 v[114:115], v[84:85], s[16:17], -v[114:115]
	v_add_f64 v[40:41], v[42:43], v[40:41]
	v_fma_f64 v[42:43], v[72:73], s[24:25], v[0:1]
	v_add_f64 v[56:57], v[100:101], v[56:57]
	v_fma_f64 v[6:7], v[60:61], s[12:13], -v[6:7]
	v_fma_f64 v[100:101], v[138:139], s[24:25], -v[102:103]
	s_mov_b32 s31, 0x3fefac9e
	v_add_f64 v[66:67], v[140:141], v[66:67]
	s_mov_b32 s30, s4
	v_add_f64 v[114:115], v[114:115], v[40:41]
	v_fma_f64 v[54:55], v[122:123], s[18:19], v[54:55]
	v_add_f64 v[42:43], v[42:43], v[56:57]
	v_mul_f64 v[56:57], v[118:119], s[14:15]
	s_mov_b32 s29, 0xbfe14ced
	s_mov_b32 s28, s26
	v_add_f64 v[40:41], v[100:101], v[66:67]
	v_fma_f64 v[66:67], v[138:139], s[24:25], v[102:103]
	v_add_f64 v[6:7], v[6:7], v[114:115]
	v_mul_f64 v[100:101], v[8:9], s[14:15]
	v_mul_f64 v[102:103], v[80:81], s[30:31]
	v_fma_f64 v[114:115], v[58:59], s[16:17], v[56:57]
	v_fma_f64 v[64:65], v[128:129], s[22:23], v[64:65]
	v_add_f64 v[54:55], v[48:49], v[54:55]
	v_mul_f64 v[116:117], v[120:121], s[30:31]
	v_mul_f64 v[142:143], v[86:87], s[28:29]
	v_fma_f64 v[56:57], v[58:59], s[16:17], -v[56:57]
	v_fma_f64 v[140:141], v[122:123], s[16:17], -v[100:101]
	v_fma_f64 v[145:146], v[124:125], s[24:25], v[102:103]
	v_add_f64 v[114:115], v[50:51], v[114:115]
	v_fma_f64 v[78:79], v[132:133], s[16:17], v[78:79]
	v_add_f64 v[54:55], v[64:65], v[54:55]
	v_fma_f64 v[64:65], v[136:137], s[12:13], v[76:77]
	v_mul_f64 v[76:77], v[126:127], s[28:29]
	v_fma_f64 v[147:148], v[128:129], s[24:25], -v[116:117]
	v_add_f64 v[140:141], v[48:49], v[140:141]
	v_mul_f64 v[149:150], v[110:111], s[20:21]
	v_fma_f64 v[151:152], v[84:85], s[22:23], v[142:143]
	v_add_f64 v[114:115], v[145:146], v[114:115]
	v_fma_f64 v[102:103], v[124:125], s[24:25], -v[102:103]
	v_add_f64 v[56:57], v[50:51], v[56:57]
	v_fma_f64 v[0:1], v[72:73], s[24:25], -v[0:1]
	v_add_f64 v[54:55], v[78:79], v[54:55]
	v_mul_f64 v[78:79], v[130:131], s[20:21]
	v_fma_f64 v[145:146], v[132:133], s[22:23], -v[76:77]
	v_add_f64 v[140:141], v[147:148], v[140:141]
	v_mul_f64 v[147:148], v[106:107], s[6:7]
	v_fma_f64 v[153:154], v[60:61], s[18:19], v[149:150]
	v_add_f64 v[114:115], v[151:152], v[114:115]
	v_fma_f64 v[142:143], v[84:85], s[22:23], -v[142:143]
	v_fma_f64 v[100:101], v[122:123], s[16:17], v[100:101]
	v_add_f64 v[102:103], v[102:103], v[56:57]
	v_mul_f64 v[151:152], v[134:135], s[6:7]
	v_fma_f64 v[155:156], v[136:137], s[18:19], -v[78:79]
	v_add_f64 v[140:141], v[145:146], v[140:141]
	v_add_f64 v[54:55], v[64:65], v[54:55]
	v_fma_f64 v[64:65], v[72:73], s[12:13], v[147:148]
	v_add_f64 v[114:115], v[153:154], v[114:115]
	v_add_f64 v[56:57], v[0:1], v[6:7]
	v_fma_f64 v[0:1], v[60:61], s[18:19], -v[149:150]
	v_fma_f64 v[6:7], v[128:129], s[24:25], v[116:117]
	v_add_f64 v[100:101], v[48:49], v[100:101]
	v_add_f64 v[102:103], v[142:143], v[102:103]
	v_fma_f64 v[145:146], v[138:139], s[12:13], -v[151:152]
	v_add_f64 v[140:141], v[155:156], v[140:141]
	v_add_f64 v[54:55], v[66:67], v[54:55]
	;; [unrolled: 1-line block ×3, first 2 shown]
	v_fma_f64 v[114:115], v[72:73], s[12:13], -v[147:148]
	v_fma_f64 v[76:77], v[132:133], s[22:23], v[76:77]
	v_mul_f64 v[116:117], v[118:119], s[4:5]
	v_add_f64 v[6:7], v[6:7], v[100:101]
	v_add_f64 v[0:1], v[0:1], v[102:103]
	v_mul_f64 v[102:103], v[8:9], s[4:5]
	s_mov_b32 s35, 0x3fd207e7
	s_mov_b32 s34, s20
	v_add_f64 v[64:65], v[145:146], v[140:141]
	v_fma_f64 v[100:101], v[136:137], s[18:19], v[78:79]
	v_mul_f64 v[140:141], v[80:81], s[34:35]
	v_fma_f64 v[142:143], v[58:59], s[24:25], v[116:117]
	v_add_f64 v[6:7], v[76:77], v[6:7]
	v_add_f64 v[78:79], v[114:115], v[0:1]
	v_mul_f64 v[114:115], v[120:121], s[34:35]
	v_fma_f64 v[76:77], v[122:123], s[24:25], -v[102:103]
	v_mul_f64 v[145:146], v[86:87], s[6:7]
	v_mul_f64 v[149:150], v[126:127], s[6:7]
	v_fma_f64 v[147:148], v[124:125], s[18:19], v[140:141]
	v_add_f64 v[142:143], v[50:51], v[142:143]
	v_add_f64 v[6:7], v[100:101], v[6:7]
	v_fma_f64 v[100:101], v[58:59], s[24:25], -v[116:117]
	v_fma_f64 v[116:117], v[128:129], s[18:19], -v[114:115]
	v_add_f64 v[76:77], v[48:49], v[76:77]
	v_fma_f64 v[0:1], v[138:139], s[12:13], v[151:152]
	v_mul_f64 v[151:152], v[110:111], s[28:29]
	v_fma_f64 v[153:154], v[84:85], s[12:13], v[145:146]
	v_add_f64 v[142:143], v[147:148], v[142:143]
	v_mul_f64 v[147:148], v[130:131], s[28:29]
	v_fma_f64 v[140:141], v[124:125], s[18:19], -v[140:141]
	v_add_f64 v[100:101], v[50:51], v[100:101]
	v_fma_f64 v[155:156], v[132:133], s[12:13], -v[149:150]
	v_add_f64 v[76:77], v[116:117], v[76:77]
	v_mul_f64 v[116:117], v[106:107], s[14:15]
	v_fma_f64 v[157:158], v[60:61], s[22:23], v[151:152]
	v_add_f64 v[142:143], v[153:154], v[142:143]
	v_fma_f64 v[145:146], v[84:85], s[12:13], -v[145:146]
	v_fma_f64 v[102:103], v[122:123], s[24:25], v[102:103]
	v_add_f64 v[100:101], v[140:141], v[100:101]
	v_fma_f64 v[140:141], v[136:137], s[22:23], -v[147:148]
	v_add_f64 v[155:156], v[155:156], v[76:77]
	v_add_f64 v[76:77], v[0:1], v[6:7]
	v_fma_f64 v[0:1], v[72:73], s[16:17], v[116:117]
	v_add_f64 v[6:7], v[157:158], v[142:143]
	v_fma_f64 v[142:143], v[60:61], s[22:23], -v[151:152]
	v_fma_f64 v[114:115], v[128:129], s[18:19], v[114:115]
	v_add_f64 v[100:101], v[145:146], v[100:101]
	v_mul_f64 v[153:154], v[134:135], s[14:15]
	v_add_f64 v[140:141], v[140:141], v[155:156]
	v_add_f64 v[155:156], v[48:49], v[102:103]
	v_fma_f64 v[116:117], v[72:73], s[16:17], -v[116:117]
	v_add_f64 v[102:103], v[0:1], v[6:7]
	v_fma_f64 v[6:7], v[132:133], s[12:13], v[149:150]
	s_mov_b32 s7, 0xbfed1bb4
	v_add_f64 v[142:143], v[142:143], v[100:101]
	v_fma_f64 v[145:146], v[138:139], s[16:17], -v[153:154]
	v_mul_f64 v[151:152], v[118:119], s[6:7]
	v_add_f64 v[114:115], v[114:115], v[155:156]
	v_mul_f64 v[0:1], v[8:9], s[6:7]
	v_add_f64 v[10:11], v[50:51], v[10:11]
	v_add_f64 v[2:3], v[48:49], v[2:3]
	v_mul_f64 v[155:156], v[86:87], s[34:35]
	v_add_f64 v[116:117], v[116:117], v[142:143]
	v_fma_f64 v[142:143], v[136:137], s[22:23], v[147:148]
	v_add_f64 v[100:101], v[145:146], v[140:141]
	v_add_f64 v[6:7], v[6:7], v[114:115]
	v_mul_f64 v[140:141], v[80:81], s[14:15]
	v_mul_f64 v[147:148], v[120:121], s[14:15]
	v_fma_f64 v[149:150], v[122:123], s[12:13], -v[0:1]
	v_add_f64 v[4:5], v[10:11], v[4:5]
	v_add_f64 v[2:3], v[2:3], v[82:83]
	v_fma_f64 v[114:115], v[138:139], s[16:17], v[153:154]
	v_fma_f64 v[163:164], v[84:85], s[18:19], v[155:156]
	v_add_f64 v[6:7], v[142:143], v[6:7]
	v_fma_f64 v[142:143], v[58:59], s[12:13], -v[151:152]
	v_fma_f64 v[157:158], v[124:125], s[16:17], v[140:141]
	v_fma_f64 v[159:160], v[128:129], s[16:17], -v[147:148]
	v_add_f64 v[149:150], v[48:49], v[149:150]
	v_fma_f64 v[140:141], v[124:125], s[16:17], -v[140:141]
	v_fma_f64 v[155:156], v[84:85], s[18:19], -v[155:156]
	v_fma_f64 v[0:1], v[122:123], s[12:13], v[0:1]
	v_mul_f64 v[118:119], v[118:119], s[28:29]
	v_add_f64 v[142:143], v[50:51], v[142:143]
	v_add_f64 v[4:5], v[4:5], v[68:69]
	;; [unrolled: 1-line block ×4, first 2 shown]
	v_mul_f64 v[159:160], v[106:107], s[26:27]
	v_add_f64 v[114:115], v[114:115], v[6:7]
	v_fma_f64 v[147:148], v[128:129], s[16:17], v[147:148]
	v_add_f64 v[0:1], v[48:49], v[0:1]
	v_add_f64 v[140:141], v[140:141], v[142:143]
	v_mul_f64 v[80:81], v[80:81], s[6:7]
	v_add_f64 v[4:5], v[4:5], v[108:109]
	v_add_f64 v[2:3], v[2:3], v[104:105]
	v_fma_f64 v[6:7], v[72:73], s[22:23], v[159:160]
	v_mul_f64 v[8:9], v[8:9], s[28:29]
	v_fma_f64 v[145:146], v[58:59], s[12:13], v[151:152]
	v_add_f64 v[0:1], v[147:148], v[0:1]
	v_add_f64 v[140:141], v[155:156], v[140:141]
	v_fma_f64 v[155:156], v[72:73], s[22:23], -v[159:160]
	v_fma_f64 v[159:160], v[58:59], s[22:23], v[118:119]
	v_mul_f64 v[10:11], v[86:87], s[4:5]
	v_fma_f64 v[86:87], v[124:125], s[12:13], v[80:81]
	v_fma_f64 v[58:59], v[58:59], s[22:23], -v[118:119]
	v_add_f64 v[4:5], v[4:5], v[96:97]
	v_add_f64 v[2:3], v[2:3], v[98:99]
	v_mul_f64 v[96:97], v[120:121], s[6:7]
	v_fma_f64 v[98:99], v[122:123], s[22:23], v[8:9]
	v_add_f64 v[147:148], v[50:51], v[159:160]
	v_add_f64 v[145:146], v[50:51], v[145:146]
	v_mul_f64 v[153:154], v[126:127], s[34:35]
	v_mul_f64 v[161:162], v[110:111], s[30:31]
	;; [unrolled: 1-line block ×3, first 2 shown]
	v_fma_f64 v[110:111], v[84:85], s[24:25], v[10:11]
	v_mul_f64 v[118:119], v[126:127], s[4:5]
	v_fma_f64 v[8:9], v[122:123], s[22:23], -v[8:9]
	v_add_f64 v[86:87], v[86:87], v[147:148]
	v_fma_f64 v[80:81], v[124:125], s[12:13], -v[80:81]
	v_add_f64 v[50:51], v[50:51], v[58:59]
	v_add_f64 v[4:5], v[4:5], v[90:91]
	;; [unrolled: 1-line block ×3, first 2 shown]
	v_fma_f64 v[58:59], v[128:129], s[12:13], v[96:97]
	v_add_f64 v[90:91], v[48:49], v[98:99]
	v_add_f64 v[145:146], v[157:158], v[145:146]
	v_fma_f64 v[157:158], v[132:133], s[18:19], -v[153:154]
	v_add_f64 v[86:87], v[110:111], v[86:87]
	v_mul_f64 v[110:111], v[130:131], s[14:15]
	v_fma_f64 v[94:95], v[128:129], s[12:13], -v[96:97]
	v_add_f64 v[8:9], v[48:49], v[8:9]
	v_fma_f64 v[10:11], v[84:85], s[24:25], -v[10:11]
	v_add_f64 v[48:49], v[80:81], v[50:51]
	v_add_f64 v[4:5], v[4:5], v[92:93]
	;; [unrolled: 1-line block ×3, first 2 shown]
	v_fma_f64 v[50:51], v[132:133], s[24:25], v[118:119]
	v_add_f64 v[58:59], v[58:59], v[90:91]
	v_mul_f64 v[151:152], v[130:131], s[30:31]
	v_fma_f64 v[153:154], v[132:133], s[18:19], v[153:154]
	v_fma_f64 v[165:166], v[60:61], s[24:25], v[161:162]
	v_add_f64 v[149:150], v[157:158], v[149:150]
	v_fma_f64 v[157:158], v[60:61], s[24:25], -v[161:162]
	v_mul_f64 v[106:107], v[106:107], s[20:21]
	v_fma_f64 v[104:105], v[60:61], s[16:17], v[68:69]
	v_mul_f64 v[108:109], v[134:135], s[20:21]
	v_fma_f64 v[74:75], v[132:133], s[24:25], -v[118:119]
	v_add_f64 v[8:9], v[94:95], v[8:9]
	v_fma_f64 v[60:61], v[60:61], s[16:17], -v[68:69]
	v_add_f64 v[10:11], v[10:11], v[48:49]
	v_add_f64 v[4:5], v[4:5], v[62:63]
	;; [unrolled: 1-line block ×3, first 2 shown]
	v_fma_f64 v[48:49], v[136:137], s[16:17], v[110:111]
	v_add_f64 v[50:51], v[50:51], v[58:59]
	v_add_f64 v[145:146], v[163:164], v[145:146]
	v_mul_f64 v[163:164], v[134:135], s[26:27]
	v_fma_f64 v[167:168], v[136:137], s[24:25], -v[151:152]
	v_fma_f64 v[151:152], v[136:137], s[24:25], v[151:152]
	v_add_f64 v[0:1], v[153:154], v[0:1]
	v_fma_f64 v[58:59], v[136:137], s[16:17], -v[110:111]
	v_add_f64 v[8:9], v[74:75], v[8:9]
	v_fma_f64 v[62:63], v[72:73], s[18:19], -v[106:107]
	v_add_f64 v[10:11], v[60:61], v[10:11]
	v_add_f64 v[4:5], v[4:5], v[52:53]
	;; [unrolled: 1-line block ×3, first 2 shown]
	v_fma_f64 v[60:61], v[138:139], s[18:19], v[108:109]
	v_add_f64 v[50:51], v[48:49], v[50:51]
	v_add_f64 v[140:141], v[157:158], v[140:141]
	v_fma_f64 v[112:113], v[138:139], s[22:23], v[163:164]
	v_add_f64 v[0:1], v[151:152], v[0:1]
	v_add_f64 v[142:143], v[165:166], v[145:146]
	v_fma_f64 v[145:146], v[138:139], s[22:23], -v[163:164]
	v_add_f64 v[149:150], v[167:168], v[149:150]
	v_fma_f64 v[68:69], v[72:73], s[18:19], v[106:107]
	v_add_f64 v[70:71], v[104:105], v[86:87]
	v_fma_f64 v[72:73], v[138:139], s[18:19], -v[108:109]
	v_add_f64 v[8:9], v[58:59], v[8:9]
	v_add_f64 v[48:49], v[4:5], v[44:45]
	;; [unrolled: 1-line block ×7, first 2 shown]
	v_lshl_add_u32 v0, v211, 4, v213
	v_add_f64 v[60:61], v[6:7], v[142:143]
	v_add_f64 v[58:59], v[145:146], v[149:150]
	v_add_f64 v[70:71], v[68:69], v[70:71]
	v_add_f64 v[68:69], v[72:73], v[8:9]
	ds_write_b128 v212, v[46:49]
	ds_write_b128 v0, v[50:53] offset:320
	ds_write_b128 v0, v[80:83] offset:640
	;; [unrolled: 1-line block ×10, first 2 shown]
.LBB0_9:
	s_or_b64 exec, exec, s[0:1]
	s_waitcnt lgkmcnt(0)
	s_barrier
	ds_read_b128 v[40:43], v212
	ds_read_b128 v[44:47], v212 offset:352
	v_mad_u64_u32 v[0:1], s[0:1], s10, v144, 0
	s_waitcnt lgkmcnt(1)
	v_mul_f64 v[2:3], v[38:39], v[42:43]
	v_mul_f64 v[4:5], v[38:39], v[40:41]
	v_mad_u64_u32 v[6:7], s[0:1], s11, v144, v[1:2]
	v_mad_u64_u32 v[7:8], s[0:1], s8, v211, 0
	v_fma_f64 v[2:3], v[36:37], v[40:41], v[2:3]
	v_fma_f64 v[4:5], v[36:37], v[42:43], -v[4:5]
	v_mov_b32_e32 v1, v6
	v_mov_b32_e32 v6, v8
	v_mad_u64_u32 v[8:9], s[0:1], s9, v211, v[6:7]
	s_mov_b32 s0, 0x29e4129e
	s_mov_b32 s1, 0x3f729e41
	v_mul_f64 v[36:37], v[2:3], s[0:1]
	s_waitcnt lgkmcnt(0)
	v_mul_f64 v[2:3], v[22:23], v[46:47]
	v_mul_f64 v[38:39], v[4:5], s[0:1]
	;; [unrolled: 1-line block ×3, first 2 shown]
	v_lshlrev_b64 v[0:1], 4, v[0:1]
	v_mov_b32_e32 v6, s3
	v_add_co_u32_e32 v9, vcc, s2, v0
	v_addc_co_u32_e32 v6, vcc, v6, v1, vcc
	v_fma_f64 v[2:3], v[20:21], v[44:45], v[2:3]
	v_fma_f64 v[4:5], v[20:21], v[46:47], -v[4:5]
	ds_read_b128 v[20:23], v212 offset:704
	ds_read_b128 v[40:43], v212 offset:1056
	v_lshlrev_b64 v[0:1], 4, v[7:8]
	s_mul_i32 s2, s9, 0x160
	v_add_co_u32_e32 v0, vcc, v9, v0
	v_addc_co_u32_e32 v1, vcc, v6, v1, vcc
	global_store_dwordx4 v[0:1], v[36:39], off
	s_waitcnt lgkmcnt(1)
	v_mul_f64 v[6:7], v[30:31], v[20:21]
	v_mul_f64 v[36:37], v[2:3], s[0:1]
	;; [unrolled: 1-line block ×4, first 2 shown]
	s_waitcnt lgkmcnt(0)
	v_mul_f64 v[8:9], v[231:232], v[40:41]
	s_mul_hi_u32 s3, s8, 0x160
	s_add_i32 s2, s3, s2
	s_mul_i32 s3, s8, 0x160
	v_fma_f64 v[4:5], v[28:29], v[22:23], -v[6:7]
	v_mul_f64 v[6:7], v[231:232], v[42:43]
	v_fma_f64 v[2:3], v[28:29], v[20:21], v[2:3]
	ds_read_b128 v[28:31], v212 offset:1408
	v_mov_b32_e32 v10, s2
	v_add_co_u32_e32 v0, vcc, s3, v0
	v_addc_co_u32_e32 v1, vcc, v1, v10, vcc
	v_mul_f64 v[22:23], v[4:5], s[0:1]
	v_mul_f64 v[20:21], v[2:3], s[0:1]
	v_fma_f64 v[2:3], v[229:230], v[40:41], v[6:7]
	ds_read_b128 v[4:7], v212 offset:1760
	v_fma_f64 v[8:9], v[229:230], v[42:43], -v[8:9]
	s_waitcnt lgkmcnt(1)
	v_mul_f64 v[10:11], v[34:35], v[30:31]
	v_mul_f64 v[34:35], v[34:35], v[28:29]
	global_store_dwordx4 v[0:1], v[36:39], off
	v_add_co_u32_e32 v0, vcc, s3, v0
	v_mov_b32_e32 v36, s2
	v_addc_co_u32_e32 v1, vcc, v1, v36, vcc
	global_store_dwordx4 v[0:1], v[20:23], off
	s_nop 0
	v_mul_f64 v[20:21], v[2:3], s[0:1]
	v_mul_f64 v[22:23], v[8:9], s[0:1]
	v_fma_f64 v[2:3], v[32:33], v[28:29], v[10:11]
	v_fma_f64 v[8:9], v[32:33], v[30:31], -v[34:35]
	s_waitcnt lgkmcnt(0)
	v_mul_f64 v[10:11], v[218:219], v[6:7]
	v_mul_f64 v[32:33], v[218:219], v[4:5]
	ds_read_b128 v[28:31], v212 offset:2112
	v_add_co_u32_e32 v34, vcc, s3, v0
	v_addc_co_u32_e32 v35, vcc, v1, v36, vcc
	global_store_dwordx4 v[34:35], v[20:23], off
	v_fma_f64 v[4:5], v[216:217], v[4:5], v[10:11]
	v_fma_f64 v[6:7], v[216:217], v[6:7], -v[32:33]
	v_mul_f64 v[20:21], v[2:3], s[0:1]
	ds_read_b128 v[0:3], v212 offset:2464
	v_mul_f64 v[22:23], v[8:9], s[0:1]
	s_waitcnt lgkmcnt(1)
	v_mul_f64 v[8:9], v[26:27], v[30:31]
	v_mul_f64 v[10:11], v[26:27], v[28:29]
	v_add_co_u32_e32 v26, vcc, s3, v34
	v_addc_co_u32_e32 v27, vcc, v35, v36, vcc
	v_mul_f64 v[4:5], v[4:5], s[0:1]
	v_mul_f64 v[6:7], v[6:7], s[0:1]
	global_store_dwordx4 v[26:27], v[20:23], off
	v_fma_f64 v[8:9], v[24:25], v[28:29], v[8:9]
	v_fma_f64 v[10:11], v[24:25], v[30:31], -v[10:11]
	s_waitcnt lgkmcnt(0)
	v_mul_f64 v[20:21], v[235:236], v[2:3]
	v_mul_f64 v[22:23], v[235:236], v[0:1]
	v_mov_b32_e32 v32, s2
	v_add_co_u32_e32 v24, vcc, s3, v26
	v_addc_co_u32_e32 v25, vcc, v27, v32, vcc
	global_store_dwordx4 v[24:25], v[4:7], off
	v_fma_f64 v[20:21], v[233:234], v[0:1], v[20:21]
	v_mul_f64 v[4:5], v[8:9], s[0:1]
	v_mul_f64 v[6:7], v[10:11], s[0:1]
	v_fma_f64 v[22:23], v[233:234], v[2:3], -v[22:23]
	ds_read_b128 v[0:3], v212 offset:2816
	ds_read_b128 v[8:11], v212 offset:3168
	v_mov_b32_e32 v26, s2
	v_add_co_u32_e32 v24, vcc, s3, v24
	v_addc_co_u32_e32 v25, vcc, v25, v26, vcc
	s_waitcnt lgkmcnt(1)
	v_mul_f64 v[26:27], v[14:15], v[2:3]
	v_mul_f64 v[14:15], v[14:15], v[0:1]
	s_waitcnt lgkmcnt(0)
	v_mul_f64 v[28:29], v[18:19], v[10:11]
	v_mul_f64 v[18:19], v[18:19], v[8:9]
	global_store_dwordx4 v[24:25], v[4:7], off
	v_fma_f64 v[0:1], v[12:13], v[0:1], v[26:27]
	v_fma_f64 v[2:3], v[12:13], v[2:3], -v[14:15]
	v_mul_f64 v[4:5], v[20:21], s[0:1]
	v_mul_f64 v[6:7], v[22:23], s[0:1]
	v_fma_f64 v[8:9], v[16:17], v[8:9], v[28:29]
	v_fma_f64 v[10:11], v[16:17], v[10:11], -v[18:19]
	v_mov_b32_e32 v20, s2
	v_add_co_u32_e32 v12, vcc, s3, v24
	v_mul_f64 v[0:1], v[0:1], s[0:1]
	v_mul_f64 v[2:3], v[2:3], s[0:1]
	v_addc_co_u32_e32 v13, vcc, v25, v20, vcc
	global_store_dwordx4 v[12:13], v[4:7], off
	v_mov_b32_e32 v14, s2
	v_mul_f64 v[4:5], v[8:9], s[0:1]
	v_mul_f64 v[6:7], v[10:11], s[0:1]
	v_add_co_u32_e32 v8, vcc, s3, v12
	v_addc_co_u32_e32 v9, vcc, v13, v14, vcc
	global_store_dwordx4 v[8:9], v[0:3], off
	s_nop 0
	v_mov_b32_e32 v1, s2
	v_add_co_u32_e32 v0, vcc, s3, v8
	v_addc_co_u32_e32 v1, vcc, v9, v1, vcc
	global_store_dwordx4 v[0:1], v[4:7], off
.LBB0_10:
	s_endpgm
	.section	.rodata,"a",@progbits
	.p2align	6, 0x0
	.amdhsa_kernel bluestein_single_back_len220_dim1_dp_op_CI_CI
		.amdhsa_group_segment_fixed_size 17600
		.amdhsa_private_segment_fixed_size 128
		.amdhsa_kernarg_size 104
		.amdhsa_user_sgpr_count 6
		.amdhsa_user_sgpr_private_segment_buffer 1
		.amdhsa_user_sgpr_dispatch_ptr 0
		.amdhsa_user_sgpr_queue_ptr 0
		.amdhsa_user_sgpr_kernarg_segment_ptr 1
		.amdhsa_user_sgpr_dispatch_id 0
		.amdhsa_user_sgpr_flat_scratch_init 0
		.amdhsa_user_sgpr_private_segment_size 0
		.amdhsa_uses_dynamic_stack 0
		.amdhsa_system_sgpr_private_segment_wavefront_offset 1
		.amdhsa_system_sgpr_workgroup_id_x 1
		.amdhsa_system_sgpr_workgroup_id_y 0
		.amdhsa_system_sgpr_workgroup_id_z 0
		.amdhsa_system_sgpr_workgroup_info 0
		.amdhsa_system_vgpr_workitem_id 0
		.amdhsa_next_free_vgpr 256
		.amdhsa_next_free_sgpr 48
		.amdhsa_reserve_vcc 1
		.amdhsa_reserve_flat_scratch 0
		.amdhsa_float_round_mode_32 0
		.amdhsa_float_round_mode_16_64 0
		.amdhsa_float_denorm_mode_32 3
		.amdhsa_float_denorm_mode_16_64 3
		.amdhsa_dx10_clamp 1
		.amdhsa_ieee_mode 1
		.amdhsa_fp16_overflow 0
		.amdhsa_exception_fp_ieee_invalid_op 0
		.amdhsa_exception_fp_denorm_src 0
		.amdhsa_exception_fp_ieee_div_zero 0
		.amdhsa_exception_fp_ieee_overflow 0
		.amdhsa_exception_fp_ieee_underflow 0
		.amdhsa_exception_fp_ieee_inexact 0
		.amdhsa_exception_int_div_zero 0
	.end_amdhsa_kernel
	.text
.Lfunc_end0:
	.size	bluestein_single_back_len220_dim1_dp_op_CI_CI, .Lfunc_end0-bluestein_single_back_len220_dim1_dp_op_CI_CI
                                        ; -- End function
	.section	.AMDGPU.csdata,"",@progbits
; Kernel info:
; codeLenInByte = 13812
; NumSgprs: 52
; NumVgprs: 256
; ScratchSize: 128
; MemoryBound: 0
; FloatMode: 240
; IeeeMode: 1
; LDSByteSize: 17600 bytes/workgroup (compile time only)
; SGPRBlocks: 6
; VGPRBlocks: 63
; NumSGPRsForWavesPerEU: 52
; NumVGPRsForWavesPerEU: 256
; Occupancy: 1
; WaveLimiterHint : 1
; COMPUTE_PGM_RSRC2:SCRATCH_EN: 1
; COMPUTE_PGM_RSRC2:USER_SGPR: 6
; COMPUTE_PGM_RSRC2:TRAP_HANDLER: 0
; COMPUTE_PGM_RSRC2:TGID_X_EN: 1
; COMPUTE_PGM_RSRC2:TGID_Y_EN: 0
; COMPUTE_PGM_RSRC2:TGID_Z_EN: 0
; COMPUTE_PGM_RSRC2:TIDIG_COMP_CNT: 0
	.type	__hip_cuid_425786767dab51e2,@object ; @__hip_cuid_425786767dab51e2
	.section	.bss,"aw",@nobits
	.globl	__hip_cuid_425786767dab51e2
__hip_cuid_425786767dab51e2:
	.byte	0                               ; 0x0
	.size	__hip_cuid_425786767dab51e2, 1

	.ident	"AMD clang version 19.0.0git (https://github.com/RadeonOpenCompute/llvm-project roc-6.4.0 25133 c7fe45cf4b819c5991fe208aaa96edf142730f1d)"
	.section	".note.GNU-stack","",@progbits
	.addrsig
	.addrsig_sym __hip_cuid_425786767dab51e2
	.amdgpu_metadata
---
amdhsa.kernels:
  - .args:
      - .actual_access:  read_only
        .address_space:  global
        .offset:         0
        .size:           8
        .value_kind:     global_buffer
      - .actual_access:  read_only
        .address_space:  global
        .offset:         8
        .size:           8
        .value_kind:     global_buffer
      - .actual_access:  read_only
        .address_space:  global
        .offset:         16
        .size:           8
        .value_kind:     global_buffer
      - .actual_access:  read_only
        .address_space:  global
        .offset:         24
        .size:           8
        .value_kind:     global_buffer
      - .actual_access:  read_only
        .address_space:  global
        .offset:         32
        .size:           8
        .value_kind:     global_buffer
      - .offset:         40
        .size:           8
        .value_kind:     by_value
      - .address_space:  global
        .offset:         48
        .size:           8
        .value_kind:     global_buffer
      - .address_space:  global
        .offset:         56
        .size:           8
        .value_kind:     global_buffer
      - .address_space:  global
        .offset:         64
        .size:           8
        .value_kind:     global_buffer
      - .address_space:  global
        .offset:         72
        .size:           8
        .value_kind:     global_buffer
      - .offset:         80
        .size:           4
        .value_kind:     by_value
      - .address_space:  global
        .offset:         88
        .size:           8
        .value_kind:     global_buffer
      - .address_space:  global
        .offset:         96
        .size:           8
        .value_kind:     global_buffer
    .group_segment_fixed_size: 17600
    .kernarg_segment_align: 8
    .kernarg_segment_size: 104
    .language:       OpenCL C
    .language_version:
      - 2
      - 0
    .max_flat_workgroup_size: 110
    .name:           bluestein_single_back_len220_dim1_dp_op_CI_CI
    .private_segment_fixed_size: 128
    .sgpr_count:     52
    .sgpr_spill_count: 0
    .symbol:         bluestein_single_back_len220_dim1_dp_op_CI_CI.kd
    .uniform_work_group_size: 1
    .uses_dynamic_stack: false
    .vgpr_count:     256
    .vgpr_spill_count: 31
    .wavefront_size: 64
amdhsa.target:   amdgcn-amd-amdhsa--gfx906
amdhsa.version:
  - 1
  - 2
...

	.end_amdgpu_metadata
